;; amdgpu-corpus repo=ROCm/aiter kind=harvested arch=n/a opt=n/a

/root/src/amdgpu-assembly/repos/ROCm__aiter/hsa/gfx942/fp8gemm_blockscale/fp8gemm_bf16_blockscale_BpreShuffle_48x128.co:	file format elf64-amdgpu

Disassembly of section .text:

0000000000002300 <_ZN5aiter42fp8gemm_bf16_blockscale_BpreShuffle_48x128E>:
	s_and_b32 s1, s1, 0xffff                                   // 000000002300: 8601FF01 0000FFFF
	s_load_dwordx2 s[16:17], s[0:1], 0x0                       // 000000002308: C0060400 00000000
	s_load_dwordx2 s[4:5], s[0:1], 0x10                        // 000000002310: C0060100 00000010
	s_load_dwordx2 s[8:9], s[0:1], 0x20                        // 000000002318: C0060200 00000020
	s_load_dwordx2 s[20:21], s[0:1], 0x30                      // 000000002320: C0060500 00000030
	s_load_dwordx2 s[24:25], s[0:1], 0x40                      // 000000002328: C0060600 00000040
	s_load_dwordx2 s[28:29], s[0:1], 0x50                      // 000000002330: C0060700 00000050
	s_load_dword s32, s[0:1], 0x60                             // 000000002338: C0020800 00000060
	s_load_dword s33, s[0:1], 0x70                             // 000000002340: C0020840 00000070
	s_load_dword s34, s[0:1], 0x80                             // 000000002348: C0020880 00000080
	s_load_dword s35, s[0:1], 0x90                             // 000000002350: C00208C0 00000090
	s_load_dword s36, s[0:1], 0xa0                             // 000000002358: C0020900 000000A0
	s_load_dword s37, s[0:1], 0xb0                             // 000000002360: C0020940 000000B0
	s_load_dword s38, s[0:1], 0xc0                             // 000000002368: C0020980 000000C0
	s_load_dword s39, s[0:1], 0xd0                             // 000000002370: C00209C0 000000D0
	s_load_dword s40, s[0:1], 0xe0                             // 000000002378: C0020A00 000000E0
	s_load_dword s41, s[0:1], 0xf0                             // 000000002380: C0020A40 000000F0
	v_lshrrev_b32_e32 v1, 10, v0                               // 000000002388: 2002008A
	v_lshrrev_b32_e32 v2, 10, v1                               // 00000000238C: 2004028A
	v_and_b32_e32 v2, 0x3ff, v2                                // 000000002390: 260404FF 000003FF
	v_and_b32_e32 v1, 0x3ff, v1                                // 000000002398: 260202FF 000003FF
	v_and_b32_e32 v0, 0x3ff, v0                                // 0000000023A0: 260000FF 000003FF
	v_lshrrev_b32_e32 v3, 6, v0                                // 0000000023A8: 20060086
	v_and_b32_e32 v0, 63, v0                                   // 0000000023AC: 260000BF
	s_mov_b32 s44, s2                                          // 0000000023B0: BEAC0002
	s_mov_b32 s45, s3                                          // 0000000023B4: BEAD0003
	s_waitcnt lgkmcnt(0)                                       // 0000000023B8: BF8CC07F
	v_readfirstlane_b32 s47, v3                                // 0000000023BC: 7E5E0503
	s_mov_b32 s6, 0x80000000                                   // 0000000023C0: BE8600FF 80000000
	s_mov_b32 s10, 0x80000000                                  // 0000000023C8: BE8A00FF 80000000
	s_mov_b32 s22, 0x80000000                                  // 0000000023D0: BE9600FF 80000000
	s_mov_b32 s26, 0x80000000                                  // 0000000023D8: BE9A00FF 80000000
	s_mov_b32 s30, 0x80000000                                  // 0000000023E0: BE9E00FF 80000000
	s_mov_b32 s7, 0x20000                                      // 0000000023E8: BE8700FF 00020000
	s_mov_b32 s11, 0x20000                                     // 0000000023F0: BE8B00FF 00020000
	s_mov_b32 s23, 0x20000                                     // 0000000023F8: BE9700FF 00020000
	s_mov_b32 s27, 0x20000                                     // 000000002400: BE9B00FF 00020000
	s_mov_b32 s31, 0x20000                                     // 000000002408: BE9F00FF 00020000
	s_and_b32 s5, s5, 0xffff                                   // 000000002410: 8605FF05 0000FFFF
	s_and_b32 s9, s9, 0xffff                                   // 000000002418: 8609FF09 0000FFFF
	s_and_b32 s21, s21, 0xffff                                 // 000000002420: 8615FF15 0000FFFF
	s_and_b32 s25, s25, 0xffff                                 // 000000002428: 8619FF19 0000FFFF
	s_and_b32 s29, s29, 0xffff                                 // 000000002430: 861DFF1D 0000FFFF
	s_or_b32 s5, s5, 0x40000                                   // 000000002438: 8705FF05 00040000
	s_or_b32 s9, s9, 0x40000                                   // 000000002440: 8709FF09 00040000
	s_or_b32 s21, s21, 0x40000                                 // 000000002448: 8715FF15 00040000
	s_or_b32 s25, s25, 0x40000                                 // 000000002450: 8719FF19 00040000
	s_or_b32 s29, s29, 0x40000                                 // 000000002458: 871DFF1D 00040000
	s_mov_b32 s61, s44                                         // 000000002460: BEBD002C
	s_mov_b32 s62, s38                                         // 000000002464: BEBE0026
	v_cvt_f32_u32_e32 v4, s62                                  // 000000002468: 7E080C3E
	s_sub_i32 s50, 0, s62                                      // 00000000246C: 81B23E80
	v_rcp_iflag_f32_e32 v4, v4                                 // 000000002470: 7E084704
	s_nop 0                                                    // 000000002474: BF800000
	v_mul_f32_e32 v4, 0x4f7ffffe, v4                           // 000000002478: 0A0808FF 4F7FFFFE
	v_cvt_u32_f32_e32 v4, v4                                   // 000000002480: 7E080F04
	v_mul_lo_u32 v5, s50, v4                                   // 000000002484: D2850005 00020832
	v_mul_hi_u32 v5, v4, v5                                    // 00000000248C: D2860005 00020B04
	v_add_u32_e32 v4, v4, v5                                   // 000000002494: 68080B04
	v_mul_hi_u32 v4, s61, v4                                   // 000000002498: D2860004 0002083D
	v_mul_lo_u32 v5, v4, s62                                   // 0000000024A0: D2850005 00007D04
	v_sub_u32_e32 v7, s61, v5                                  // 0000000024A8: 6A0E0A3D
	v_add_u32_e32 v6, 1, v4                                    // 0000000024AC: 680C0881
	v_cmp_le_u32_e32 vcc, s62, v7                              // 0000000024B0: 7D960E3E
	v_subrev_u32_e32 v5, s62, v7                               // 0000000024B4: 6C0A0E3E
	s_nop 0                                                    // 0000000024B8: BF800000
	v_cndmask_b32_e32 v4, v4, v6, vcc                          // 0000000024BC: 00080D04
	v_cndmask_b32_e32 v7, v7, v5, vcc                          // 0000000024C0: 000E0B07
	v_add_u32_e32 v5, 1, v4                                    // 0000000024C4: 680A0881
	v_cmp_le_u32_e32 vcc, s62, v7                              // 0000000024C8: 7D960E3E
	s_nop 1                                                    // 0000000024CC: BF800001
	v_cndmask_b32_e32 v7, v4, v5, vcc                          // 0000000024D0: 000E0B04
	s_nop 3                                                    // 0000000024D4: BF800003
	v_readfirstlane_b32 s63, v7                                // 0000000024D8: 7E7E0507
	s_nop 3                                                    // 0000000024DC: BF800003
	s_mov_b32 s44, s63                                         // 0000000024E0: BEAC003F
	s_mul_i32 s50, s44, s38                                    // 0000000024E4: 9232262C
	s_sub_u32 s75, s61, s50                                    // 0000000024E8: 80CB323D
	s_mov_b32 s61, s34                                         // 0000000024EC: BEBD0022
	s_mov_b32 s62, s38                                         // 0000000024F0: BEBE0026
	v_cvt_f32_u32_e32 v4, s62                                  // 0000000024F4: 7E080C3E
	s_sub_i32 s50, 0, s62                                      // 0000000024F8: 81B23E80
	v_rcp_iflag_f32_e32 v4, v4                                 // 0000000024FC: 7E084704
	s_nop 0                                                    // 000000002500: BF800000
	v_mul_f32_e32 v4, 0x4f7ffffe, v4                           // 000000002504: 0A0808FF 4F7FFFFE
	v_cvt_u32_f32_e32 v4, v4                                   // 00000000250C: 7E080F04
	v_mul_lo_u32 v5, s50, v4                                   // 000000002510: D2850005 00020832
	v_mul_hi_u32 v5, v4, v5                                    // 000000002518: D2860005 00020B04
	v_add_u32_e32 v4, v4, v5                                   // 000000002520: 68080B04
	v_mul_hi_u32 v4, s61, v4                                   // 000000002524: D2860004 0002083D
	v_mul_lo_u32 v5, v4, s62                                   // 00000000252C: D2850005 00007D04
	v_sub_u32_e32 v7, s61, v5                                  // 000000002534: 6A0E0A3D
	v_add_u32_e32 v6, 1, v4                                    // 000000002538: 680C0881
	v_cmp_le_u32_e32 vcc, s62, v7                              // 00000000253C: 7D960E3E
	v_subrev_u32_e32 v5, s62, v7                               // 000000002540: 6C0A0E3E
	s_nop 0                                                    // 000000002544: BF800000
	v_cndmask_b32_e32 v4, v4, v6, vcc                          // 000000002548: 00080D04
	v_cndmask_b32_e32 v7, v7, v5, vcc                          // 00000000254C: 000E0B07
	v_add_u32_e32 v5, 1, v4                                    // 000000002550: 680A0881
	v_cmp_le_u32_e32 vcc, s62, v7                              // 000000002554: 7D960E3E
	s_nop 1                                                    // 000000002558: BF800001
	v_cndmask_b32_e32 v7, v4, v5, vcc                          // 00000000255C: 000E0B04
	s_nop 3                                                    // 000000002560: BF800003
	v_readfirstlane_b32 s63, v7                                // 000000002564: 7E7E0507
	s_nop 3                                                    // 000000002568: BF800003
	s_add_u32 s63, 0x7f, s63                                   // 00000000256C: 803F3FFF 0000007F
	s_lshr_b32 s63, s63, 7                                     // 000000002574: 8F3F873F
	s_lshl_b32 s76, s63, 7                                     // 000000002578: 8E4C873F
	s_mul_i32 s51, s76, s75                                    // 00000000257C: 92334B4C
	s_sub_i32 s50, s34, s51                                    // 000000002580: 81B23322
	s_cmp_lt_i32 s50, s76                                      // 000000002584: BF044C32
	s_cselect_b32 s34, s50, s76                                // 000000002588: 85224C32
	s_mul_i32 s50, s45, 48                                     // 00000000258C: 9232B02D
	s_mul_i32 s51, s50, s37                                    // 000000002590: 92332532
	s_mul_hi_u32 s52, s50, s37                                 // 000000002594: 96342532
	s_add_u32 s16, s16, s51                                    // 000000002598: 80103310
	s_addc_u32 s17, s17, s52                                   // 00000000259C: 82113411
	s_mul_i32 s50, s44, 0x80                                   // 0000000025A0: 9232FF2C 00000080
	s_mul_i32 s51, s50, 2                                      // 0000000025A8: 92338232
	s_mul_hi_u32 s52, s50, 2                                   // 0000000025AC: 96348232
	s_add_u32 s16, s16, s51                                    // 0000000025B0: 80103310
	s_addc_u32 s17, s17, s52                                   // 0000000025B4: 82113411
	s_mov_b32 s80, s16                                         // 0000000025B8: BED00010
	s_mov_b32 s81, s17                                         // 0000000025BC: BED10011
	s_mul_i32 s50, s45, 48                                     // 0000000025C0: 9232B02D
	s_sub_i32 s51, s32, s50                                    // 0000000025C4: 81B33220
	s_cmp_lt_u32 s51, 48                                       // 0000000025C8: BF0AB033
	s_cselect_b32 s50, s51, 48                                 // 0000000025CC: 8532B033
	s_mul_i32 s51, s50, s37                                    // 0000000025D0: 92332532
	s_mov_b32 s18, s51                                         // 0000000025D4: BE920033
	s_mov_b32 s82, 0x80000000                                  // 0000000025D8: BED200FF 80000000
	s_mov_b32 s19, 0x20000                                     // 0000000025E0: BE9300FF 00020000
	s_and_b32 s17, s17, 0xffff                                 // 0000000025E8: 8611FF11 0000FFFF
	s_and_b32 s81, s81, 0xffff                                 // 0000000025F0: 8651FF51 0000FFFF
	s_or_b32 s17, s17, 0x40000                                 // 0000000025F8: 8711FF11 00040000
	s_mov_b32 s48, 0x7060302                                   // 000000002600: BEB000FF 07060302
	v_mov_b32_e32 v9, 0xffff0000                               // 000000002608: 7E1202FF FFFF0000
	v_mov_b32_e32 v10, 0x7fff0000                              // 000000002610: 7E1402FF 7FFF0000
	v_mov_b32_e32 v11, 0x7fff                                  // 000000002618: 7E1602FF 00007FFF
	s_mul_i32 s50, 0x80, s44                                   // 000000002620: 92322CFF 00000080
	s_mul_hi_u32 s51, 4, s50                                   // 000000002628: 96333284
	s_add_u32 s29, s29, s51                                    // 00000000262C: 801D331D
	s_mul_i32 s51, 4, s50                                      // 000000002630: 92333284
	s_add_u32 s28, s28, s51                                    // 000000002634: 801C331C
	s_addc_u32 s29, s29, 0                                     // 000000002638: 821D801D
	s_sub_i32 s51, s33, s50                                    // 00000000263C: 81B33221
	s_cmp_lt_u32 s51, 0x80                                     // 000000002640: BF0AFF33 00000080
	s_cselect_b32 s50, s51, 0x80                               // 000000002648: 8532FF33 00000080
	s_mul_i32 s51, 4, s50                                      // 000000002650: 92333284
	s_mov_b32 s30, s51                                         // 000000002654: BE9E0033
	s_mov_b32 s31, 0x20000                                     // 000000002658: BE9F00FF 00020000
	v_lshrrev_b32_e32 v4, 4, v0                                // 000000002660: 20080084
	v_lshlrev_b32_e32 v4, 4, v4                                // 000000002664: 24080884
	s_mul_i32 s52, s47, 0x80                                   // 000000002668: 9234FF2F 00000080
	v_add_u32_e64 v4, v4, s52                                  // 000000002670: D1340004 00006904
	v_add_u32_e64 v5, v4, 64                                   // 000000002678: D1340005 00018104
	buffer_load_dwordx4 v[12:15], v4, s[28:31], 0 offen        // 000000002680: E05C1000 80070C04
	buffer_load_dwordx4 v[16:19], v5, s[28:31], 0 offen        // 000000002688: E05C1000 80071005
	s_mul_i32 s50, 48, s45                                     // 000000002690: 92322DB0
	s_mul_hi_u32 s52, 4, s50                                   // 000000002694: 96343284
	s_mul_i32 s51, 4, s50                                      // 000000002698: 92333284
	s_add_u32 s20, s20, s51                                    // 00000000269C: 80143314
	s_addc_u32 s21, s21, s52                                   // 0000000026A0: 82153415
	s_sub_i32 s51, s32, s50                                    // 0000000026A4: 81B33220
	s_cmp_lt_u32 s51, 48                                       // 0000000026A8: BF0AB033
	s_cselect_b32 s50, s51, 48                                 // 0000000026AC: 8532B033
	s_lshl_b32 s51, s50, 2                                     // 0000000026B0: 8E338232
	s_mov_b32 s22, s51                                         // 0000000026B4: BE960033
	s_mov_b32 s23, 0x20000                                     // 0000000026B8: BE9700FF 00020000
	s_lshr_b32 s50, s76, 7                                     // 0000000026C0: 8F32874C
	s_mul_i32 s50, s50, s75                                    // 0000000026C4: 92324B32
	s_mul_i32 s51, s50, s32                                    // 0000000026C8: 92332032
	s_mul_hi_u32 s52, s50, s32                                 // 0000000026CC: 96342032
	s_lshr_b32 s50, s51, 30                                    // 0000000026D0: 8F329E33
	s_lshl_b32 s51, s51, 2                                     // 0000000026D4: 8E338233
	s_lshl_b32 s52, s52, 2                                     // 0000000026D8: 8E348234
	s_add_u32 s52, s52, s50                                    // 0000000026DC: 80343234
	s_add_u32 s20, s20, s51                                    // 0000000026E0: 80143314
	s_addc_u32 s21, s21, s52                                   // 0000000026E4: 82153415
	v_and_b32_e64 v109, v0, 15                                 // 0000000026E8: D113006D 00011F00
	v_lshlrev_b32_e32 v109, 2, v109                            // 0000000026F0: 24DADA82
	s_mov_b32 s50, 64                                          // 0000000026F4: BEB200C0
	v_add_u32_e64 v110, v109, s50                              // 0000000026F8: D134006E 0000656D
	s_mov_b32 s50, 0x80                                        // 000000002700: BEB200FF 00000080
	v_add_u32_e64 v111, v109, s50                              // 000000002708: D134006F 0000656D
	s_mul_i32 s51, s41, s44                                    // 000000002710: 92332C29
	s_mul_hi_u32 s52, 4, s51                                   // 000000002714: 96343384
	s_add_u32 s25, s25, s52                                    // 000000002718: 80193419
	s_mul_i32 s52, 4, s51                                      // 00000000271C: 92343384
	s_add_u32 s24, s24, s52                                    // 000000002720: 80183418
	s_addc_u32 s25, s25, 0                                     // 000000002724: 82198019
	s_lshr_b32 s50, s76, 7                                     // 000000002728: 8F32874C
	s_mul_i32 s50, s50, s75                                    // 00000000272C: 92324B32
	s_lshl_b32 s50, s50, 2                                     // 000000002730: 8E328232
	s_add_u32 s24, s24, s50                                    // 000000002734: 80183218
	s_addc_u32 s25, s25, 0                                     // 000000002738: 82198019
	s_sub_u32 s26, s26, s50                                    // 00000000273C: 809A321A
	v_mov_b32_e32 v115, 0                                      // 000000002740: 7EE60280
	v_lshrrev_b32_e32 v4, 5, v0                                // 000000002744: 20080085
	v_lshlrev_b32_e32 v4, 2, v4                                // 000000002748: 24080882
	v_mul_i32_i24_e32 v4, s35, v4                              // 00000000274C: 0C080823
	v_and_b32_e32 v32, 31, v0                                  // 000000002750: 2640009F
	v_lshlrev_b32_e32 v32, 2, v32                              // 000000002754: 24404082
	s_mul_i32 s50, 48, s45                                     // 000000002758: 92322DB0
	s_sub_i32 s51, s32, s50                                    // 00000000275C: 81B33220
	s_cmp_lt_u32 s51, 48                                       // 000000002760: BF0AB033
	s_cselect_b32 s51, s51, 48                                 // 000000002764: 8533B033
	s_mul_i32 s52, s35, s50                                    // 000000002768: 92343223
	s_mul_hi_u32 s50, s35, s50                                 // 00000000276C: 96323223
	s_add_u32 s4, s4, s52                                      // 000000002770: 80043404
	s_addc_u32 s5, s5, s50                                     // 000000002774: 82053205
	s_mul_i32 s50, s35, s51                                    // 000000002778: 92323323
	s_mov_b32 s6, s50                                          // 00000000277C: BE860032
	s_mov_b32 s7, 0x20000                                      // 000000002780: BE8700FF 00020000
	s_mul_i32 s51, s76, s75                                    // 000000002788: 92334B4C
	s_add_u32 s4, s51, s4                                      // 00000000278C: 80040433
	s_addc_u32 s5, 0, s5                                       // 000000002790: 82050580
	s_sub_u32 s6, s6, s51                                      // 000000002794: 80863306
	s_mul_i32 s50, s35, s47                                    // 000000002798: 92322F23
	v_add3_u32 v32, v4, v32, s50                               // 00000000279C: D1FF0020 00CA4104
	s_lshl_b32 s50, s35, 3                                     // 0000000027A4: 8E328323
	v_add_u32_e32 v33, s50, v32                                // 0000000027A8: 68424032
	v_add_u32_e32 v34, s50, v33                                // 0000000027AC: 68444232
	v_add_u32_e32 v35, s50, v34                                // 0000000027B0: 68464432
	v_add_u32_e32 v36, s50, v35                                // 0000000027B4: 68484632
	v_add_u32_e32 v37, s50, v36                                // 0000000027B8: 684A4832
	s_mov_b32 s54, 0x80                                        // 0000000027BC: BEB600FF 00000080
	s_mul_i32 s56, s32, 4                                      // 0000000027C4: 92388420
	s_mov_b32 s57, 4                                           // 0000000027C8: BEB90084
	s_mov_b32 s50, 48                                          // 0000000027CC: BEB200B0
	s_lshr_b32 s50, s50, 2                                     // 0000000027D0: 8F328232
	s_mul_i32 s50, s50, 32                                     // 0000000027D4: 9232A032
	s_mov_b32 s51, 8                                           // 0000000027D8: BEB30088
	s_add_u32 s50, s50, s51                                    // 0000000027DC: 80323332
	v_lshrrev_b32_e32 v4, 4, v0                                // 0000000027E0: 20080084
	v_and_b32_e32 v5, 15, v0                                   // 0000000027E4: 260A008F
	v_and_b32_e32 v6, 3, v5                                    // 0000000027E8: 260C0A83
	v_lshrrev_b32_e32 v7, 2, v5                                // 0000000027EC: 200E0A82
	v_lshlrev_b32_e32 v4, 2, v4                                // 0000000027F0: 24080882
	v_mul_lo_u32 v6, v6, s50                                   // 0000000027F4: D2850006 00006506
	v_lshlrev_b32_e32 v7, 5, v7                                // 0000000027FC: 240E0E85
	v_add_u32_e32 v4, v4, v6                                   // 000000002800: 68080D04
	v_add_u32_e32 v4, v4, v7                                   // 000000002804: 68080F04
	v_lshlrev_b32_e32 v38, 2, v4                               // 000000002808: 244C0882
	s_mul_i32 s50, 0x620, s47                                  // 00000000280C: 92322FFF 00000620
	s_add_u32 s58, 0, s50                                      // 000000002814: 803A3280
	s_add_u32 s59, 0x1880, s58                                 // 000000002818: 803B3AFF 00001880
	s_add_u32 s60, 0x1880, s59                                 // 000000002820: 803C3BFF 00001880
	s_mov_b32 s55, 0x800                                       // 000000002828: BEB700FF 00000800
	s_mul_i32 s49, 0x80, s44                                   // 000000002830: 92312CFF 00000080
	s_sub_i32 s51, s33, s49                                    // 000000002838: 81B33121
	s_cmp_lt_u32 s51, 0x80                                     // 00000000283C: BF0AFF33 00000080
	s_cselect_b32 s50, s51, 0x80                               // 000000002844: 8532FF33 00000080
	s_mul_i32 s51, s36, s49                                    // 00000000284C: 92333124
	s_mul_hi_u32 s52, s36, s49                                 // 000000002850: 96343124
	s_add_u32 s8, s8, s51                                      // 000000002854: 80083308
	s_addc_u32 s9, s9, s52                                     // 000000002858: 82093409
	s_mul_i32 s51, s36, s50                                    // 00000000285C: 92333224
	s_mov_b32 s10, s51                                         // 000000002860: BE8A0033
	s_mov_b32 s11, 0x20000                                     // 000000002864: BE8B00FF 00020000
	s_lshr_b32 s51, s76, 7                                     // 00000000286C: 8F33874C
	s_mul_i32 s50, s55, s75                                    // 000000002870: 92324B37
	s_mul_i32 s50, s51, s50                                    // 000000002874: 92323233
	s_add_u32 s8, s50, s8                                      // 000000002878: 80080832
	s_addc_u32 s9, 0, s9                                       // 00000000287C: 82090980
	s_sub_u32 s10, s10, s50                                    // 000000002880: 808A320A
	s_lshl_b32 s50, s47, 5                                     // 000000002884: 8E32852F
	s_mul_i32 s50, s36, s50                                    // 000000002888: 92323224
	v_lshlrev_b32_e32 v28, 4, v0                               // 00000000288C: 24380084
	v_add_u32_e32 v28, s50, v28                                // 000000002890: 68383832
	s_mov_b32 s50, 0x400                                       // 000000002894: BEB200FF 00000400
	v_add_u32_e64 v29, v28, s50                                // 00000000289C: D134001D 0000651C
	s_mul_i32 s50, s36, 16                                     // 0000000028A4: 92329024
	v_add_u32_e64 v30, v28, s50                                // 0000000028A8: D134001E 0000651C
	v_add_u32_e64 v31, v29, s50                                // 0000000028B0: D134001F 0000651D
	s_add_u32 m0, 0, s58                                       // 0000000028B8: 807C3A80
	buffer_load_dword v32, s[4:7], 0 offen lds                 // 0000000028BC: E0511000 80010020
	s_add_u32 m0, 0x100, s58                                   // 0000000028C4: 807C3AFF 00000100
	buffer_load_dword v33, s[4:7], 0 offen lds                 // 0000000028CC: E0511000 80010021
	s_add_u32 m0, 0x200, s58                                   // 0000000028D4: 807C3AFF 00000200
	buffer_load_dword v34, s[4:7], 0 offen lds                 // 0000000028DC: E0511000 80010022
	s_add_u32 m0, 0x300, s58                                   // 0000000028E4: 807C3AFF 00000300
	buffer_load_dword v35, s[4:7], 0 offen lds                 // 0000000028EC: E0511000 80010023
	s_add_u32 m0, 0x400, s58                                   // 0000000028F4: 807C3AFF 00000400
	buffer_load_dword v36, s[4:7], 0 offen lds                 // 0000000028FC: E0511000 80010024
	s_add_u32 m0, 0x500, s58                                   // 000000002904: 807C3AFF 00000500
	buffer_load_dword v37, s[4:7], 0 offen lds                 // 00000000290C: E0511000 80010025
	s_mov_b32 s53, 0                                           // 000000002914: BEB50080
	s_add_u32 s50, 0x80, s53                                   // 000000002918: 803235FF 00000080
	s_cmp_lt_u32 s50, s34                                      // 000000002920: BF0A2232
	s_cselect_b32 s54, s54, 0                                  // 000000002924: 85368036
	s_add_u32 s4, s54, s4                                      // 000000002928: 80040436
	s_addc_u32 s5, 0, s5                                       // 00000000292C: 82050580
	s_sub_u32 s6, s6, s54                                      // 000000002930: 80863606
	buffer_load_dword v88, v109, s[20:23], 0 offen             // 000000002934: E0501000 8005586D
	buffer_load_dword v89, v110, s[20:23], 0 offen             // 00000000293C: E0501000 8005596E
	buffer_load_dword v90, v111, s[20:23], 0 offen             // 000000002944: E0501000 80055A6F
	s_add_u32 s50, 0x80, s53                                   // 00000000294C: 803235FF 00000080
	s_cmp_lt_u32 s50, s34                                      // 000000002954: BF0A2232
	s_cselect_b32 s56, s56, 0                                  // 000000002958: 85388038
	s_add_u32 s20, s56, s20                                    // 00000000295C: 80141438
	s_addc_u32 s21, 0, s21                                     // 000000002960: 82151580
	v_mov_b32_e32 v64, 0                                       // 000000002964: 7E800280
	v_mov_b32_e32 v65, 0                                       // 000000002968: 7E820280
	v_mov_b32_e32 v66, 0                                       // 00000000296C: 7E840280
	v_mov_b32_e32 v67, 0                                       // 000000002970: 7E860280
	v_mov_b32_e32 v68, 0                                       // 000000002974: 7E880280
	v_mov_b32_e32 v69, 0                                       // 000000002978: 7E8A0280
	v_mov_b32_e32 v70, 0                                       // 00000000297C: 7E8C0280
	v_mov_b32_e32 v71, 0                                       // 000000002980: 7E8E0280
	buffer_load_dwordx4 a[0:3], v28, s[8:11], 0 offen          // 000000002984: E05C1000 8082001C
	buffer_load_dwordx4 a[4:7], v29, s[8:11], 0 offen          // 00000000298C: E05C1000 8082041D
	buffer_load_dwordx4 a[8:11], v30, s[8:11], 0 offen         // 000000002994: E05C1000 8082081E
	buffer_load_dwordx4 a[12:15], v31, s[8:11], 0 offen        // 00000000299C: E05C1000 80820C1F
	s_mov_b32 s53, 0                                           // 0000000029A4: BEB50080
	s_add_u32 s50, 0x80, s53                                   // 0000000029A8: 803235FF 00000080
	s_cmp_lt_u32 s50, s34                                      // 0000000029B0: BF0A2232
	s_cselect_b32 s55, s55, 0                                  // 0000000029B4: 85378037
	s_add_u32 s8, s55, s8                                      // 0000000029B8: 80080837
	s_addc_u32 s9, 0, s9                                       // 0000000029BC: 82090980
	s_sub_u32 s10, s10, s55                                    // 0000000029C0: 808A370A
	buffer_load_dword v106, v115, s[24:27], 0 offen            // 0000000029C4: E0501000 80066A73
	s_add_u32 s50, 0x80, s53                                   // 0000000029CC: 803235FF 00000080
	s_cmp_lt_u32 s50, s34                                      // 0000000029D4: BF0A2232
	s_cselect_b32 s57, s57, 0                                  // 0000000029D8: 85398039
	s_add_u32 s24, s57, s24                                    // 0000000029DC: 80181839
	s_addc_u32 s25, 0, s25                                     // 0000000029E0: 82191980
	s_sub_u32 s26, s26, s57                                    // 0000000029E4: 809A391A
	s_add_u32 m0, 0, s59                                       // 0000000029E8: 807C3B80
	buffer_load_dword v32, s[4:7], 0 offen lds                 // 0000000029EC: E0511000 80010020
	s_add_u32 m0, 0x100, s59                                   // 0000000029F4: 807C3BFF 00000100
	buffer_load_dword v33, s[4:7], 0 offen lds                 // 0000000029FC: E0511000 80010021
	s_add_u32 m0, 0x200, s59                                   // 000000002A04: 807C3BFF 00000200
	buffer_load_dword v34, s[4:7], 0 offen lds                 // 000000002A0C: E0511000 80010022
	s_add_u32 m0, 0x300, s59                                   // 000000002A14: 807C3BFF 00000300
	buffer_load_dword v35, s[4:7], 0 offen lds                 // 000000002A1C: E0511000 80010023
	s_add_u32 m0, 0x400, s59                                   // 000000002A24: 807C3BFF 00000400
	buffer_load_dword v36, s[4:7], 0 offen lds                 // 000000002A2C: E0511000 80010024
	s_add_u32 m0, 0x500, s59                                   // 000000002A34: 807C3BFF 00000500
	buffer_load_dword v37, s[4:7], 0 offen lds                 // 000000002A3C: E0511000 80010025
	s_mov_b32 s53, 0x80                                        // 000000002A44: BEB500FF 00000080
	s_add_u32 s50, 0x80, s53                                   // 000000002A4C: 803235FF 00000080
	s_cmp_lt_u32 s50, s34                                      // 000000002A54: BF0A2232
	s_cselect_b32 s54, s54, 0                                  // 000000002A58: 85368036
	s_add_u32 s4, s54, s4                                      // 000000002A5C: 80040436
	s_addc_u32 s5, 0, s5                                       // 000000002A60: 82050580
	s_sub_u32 s6, s6, s54                                      // 000000002A64: 80863606
	buffer_load_dword v91, v109, s[20:23], 0 offen             // 000000002A68: E0501000 80055B6D
	buffer_load_dword v92, v110, s[20:23], 0 offen             // 000000002A70: E0501000 80055C6E
	buffer_load_dword v93, v111, s[20:23], 0 offen             // 000000002A78: E0501000 80055D6F
	s_add_u32 s50, 0x80, s53                                   // 000000002A80: 803235FF 00000080
	s_cmp_lt_u32 s50, s34                                      // 000000002A88: BF0A2232
	s_cselect_b32 s56, s56, 0                                  // 000000002A8C: 85388038
	s_add_u32 s20, s56, s20                                    // 000000002A90: 80141438
	s_addc_u32 s21, 0, s21                                     // 000000002A94: 82151580
	v_mov_b32_e32 v72, 0                                       // 000000002A98: 7E900280
	v_mov_b32_e32 v73, 0                                       // 000000002A9C: 7E920280
	v_mov_b32_e32 v74, 0                                       // 000000002AA0: 7E940280
	v_mov_b32_e32 v75, 0                                       // 000000002AA4: 7E960280
	v_mov_b32_e32 v76, 0                                       // 000000002AA8: 7E980280
	v_mov_b32_e32 v77, 0                                       // 000000002AAC: 7E9A0280
	v_mov_b32_e32 v78, 0                                       // 000000002AB0: 7E9C0280
	v_mov_b32_e32 v79, 0                                       // 000000002AB4: 7E9E0280
	buffer_load_dwordx4 a[16:19], v28, s[8:11], 0 offen        // 000000002AB8: E05C1000 8082101C
	buffer_load_dwordx4 a[20:23], v29, s[8:11], 0 offen        // 000000002AC0: E05C1000 8082141D
	buffer_load_dwordx4 a[24:27], v30, s[8:11], 0 offen        // 000000002AC8: E05C1000 8082181E
	buffer_load_dwordx4 a[28:31], v31, s[8:11], 0 offen        // 000000002AD0: E05C1000 80821C1F
	s_mov_b32 s53, 0x80                                        // 000000002AD8: BEB500FF 00000080
	s_add_u32 s50, 0x80, s53                                   // 000000002AE0: 803235FF 00000080
	s_cmp_lt_u32 s50, s34                                      // 000000002AE8: BF0A2232
	s_cselect_b32 s55, s55, 0                                  // 000000002AEC: 85378037
	s_add_u32 s8, s55, s8                                      // 000000002AF0: 80080837
	s_addc_u32 s9, 0, s9                                       // 000000002AF4: 82090980
	s_sub_u32 s10, s10, s55                                    // 000000002AF8: 808A370A
	buffer_load_dword v107, v115, s[24:27], 0 offen            // 000000002AFC: E0501000 80066B73
	s_add_u32 s50, 0x80, s53                                   // 000000002B04: 803235FF 00000080
	s_cmp_lt_u32 s50, s34                                      // 000000002B0C: BF0A2232
	s_cselect_b32 s57, s57, 0                                  // 000000002B10: 85398039
	s_add_u32 s24, s57, s24                                    // 000000002B14: 80181839
	s_addc_u32 s25, 0, s25                                     // 000000002B18: 82191980
	s_sub_u32 s26, s26, s57                                    // 000000002B1C: 809A391A
	s_add_u32 m0, 0, s60                                       // 000000002B20: 807C3C80
	buffer_load_dword v32, s[4:7], 0 offen lds                 // 000000002B24: E0511000 80010020
	s_add_u32 m0, 0x100, s60                                   // 000000002B2C: 807C3CFF 00000100
	buffer_load_dword v33, s[4:7], 0 offen lds                 // 000000002B34: E0511000 80010021
	s_add_u32 m0, 0x200, s60                                   // 000000002B3C: 807C3CFF 00000200
	buffer_load_dword v34, s[4:7], 0 offen lds                 // 000000002B44: E0511000 80010022
	s_add_u32 m0, 0x300, s60                                   // 000000002B4C: 807C3CFF 00000300
	buffer_load_dword v35, s[4:7], 0 offen lds                 // 000000002B54: E0511000 80010023
	s_add_u32 m0, 0x400, s60                                   // 000000002B5C: 807C3CFF 00000400
	buffer_load_dword v36, s[4:7], 0 offen lds                 // 000000002B64: E0511000 80010024
	s_add_u32 m0, 0x500, s60                                   // 000000002B6C: 807C3CFF 00000500
	buffer_load_dword v37, s[4:7], 0 offen lds                 // 000000002B74: E0511000 80010025
	s_mov_b32 s53, 0x100                                       // 000000002B7C: BEB500FF 00000100
	s_add_u32 s50, 0x80, s53                                   // 000000002B84: 803235FF 00000080
	s_cmp_lt_u32 s50, s34                                      // 000000002B8C: BF0A2232
	s_cselect_b32 s54, s54, 0                                  // 000000002B90: 85368036
	s_add_u32 s4, s54, s4                                      // 000000002B94: 80040436
	s_addc_u32 s5, 0, s5                                       // 000000002B98: 82050580
	s_sub_u32 s6, s6, s54                                      // 000000002B9C: 80863606
	buffer_load_dword v94, v109, s[20:23], 0 offen             // 000000002BA0: E0501000 80055E6D
	buffer_load_dword v95, v110, s[20:23], 0 offen             // 000000002BA8: E0501000 80055F6E
	buffer_load_dword v96, v111, s[20:23], 0 offen             // 000000002BB0: E0501000 8005606F
	s_add_u32 s50, 0x80, s53                                   // 000000002BB8: 803235FF 00000080
	s_cmp_lt_u32 s50, s34                                      // 000000002BC0: BF0A2232
	s_cselect_b32 s56, s56, 0                                  // 000000002BC4: 85388038
	s_add_u32 s20, s56, s20                                    // 000000002BC8: 80141438
	s_addc_u32 s21, 0, s21                                     // 000000002BCC: 82151580
	v_mov_b32_e32 v80, 0                                       // 000000002BD0: 7EA00280
	v_mov_b32_e32 v81, 0                                       // 000000002BD4: 7EA20280
	v_mov_b32_e32 v82, 0                                       // 000000002BD8: 7EA40280
	v_mov_b32_e32 v83, 0                                       // 000000002BDC: 7EA60280
	v_mov_b32_e32 v84, 0                                       // 000000002BE0: 7EA80280
	v_mov_b32_e32 v85, 0                                       // 000000002BE4: 7EAA0280
	v_mov_b32_e32 v86, 0                                       // 000000002BE8: 7EAC0280
	v_mov_b32_e32 v87, 0                                       // 000000002BEC: 7EAE0280
	s_mov_b32 s43, s34                                         // 000000002BF0: BEAB0022
	s_mov_b32 s42, 0                                           // 000000002BF4: BEAA0080
	s_waitcnt vmcnt(28)                                        // 000000002BF8: BF8C4F7C
	s_barrier                                                  // 000000002BFC: BF8A0000
	ds_read_b128 a[48:51], v38                                 // 000000002C00: DBFE0000 30000026
	ds_read_b128 a[52:55], v38 offset:64                       // 000000002C08: DBFE0040 34000026
	ds_read_b128 a[56:59], v38 offset:512                      // 000000002C10: DBFE0200 38000026
	ds_read_b128 a[60:63], v38 offset:576                      // 000000002C18: DBFE0240 3C000026
	ds_read_b128 a[64:67], v38 offset:1024                     // 000000002C20: DBFE0400 40000026
	ds_read_b128 a[68:71], v38 offset:1088                     // 000000002C28: DBFE0440 44000026
	s_mov_b32 s50, 0                                           // 000000002C30: BEB20080
	s_mov_b32 s51, 1.0                                         // 000000002C34: BEB300F2
	s_cmp_eq_u32 s50, s75                                      // 000000002C38: BF064B32
	s_cselect_b32 s50, s51, 0                                  // 000000002C3C: 85328033
	v_mul_f32_e64 v12, v12, s50                                // 000000002C40: D105000C 0000650C
	v_mul_f32_e64 v13, v13, s50                                // 000000002C48: D105000D 0000650D
	v_mul_f32_e64 v14, v14, s50                                // 000000002C50: D105000E 0000650E
	v_mul_f32_e64 v15, v15, s50                                // 000000002C58: D105000F 0000650F
	v_mul_f32_e64 v16, v16, s50                                // 000000002C60: D1050010 00006510
	v_mul_f32_e64 v17, v17, s50                                // 000000002C68: D1050011 00006511
	v_mul_f32_e64 v18, v18, s50                                // 000000002C70: D1050012 00006512
	v_mul_f32_e64 v19, v19, s50                                // 000000002C78: D1050013 00006513
	v_and_b32_e64 v20, v0, 15                                  // 000000002C80: D1130014 00011F00
	v_mul_lo_u32 v20, v20, s37                                 // 000000002C88: D2850014 00004B14
	v_lshrrev_b32_e32 v4, 4, v0                                // 000000002C90: 20080084
	v_mul_i32_i24_e32 v4, 8, v4                                // 000000002C94: 0C080888
	v_add_u32_e32 v20, v4, v20                                 // 000000002C98: 68282904
	s_mul_i32 s50, 32, s47                                     // 000000002C9C: 92322FA0
	s_mul_i32 s50, 2, s50                                      // 000000002CA0: 92323282
	v_add_u32_e32 v20, s50, v20                                // 000000002CA4: 68282832
	s_mul_i32 s50, 16, s37                                     // 000000002CA8: 92322590
	v_add_u32_e32 v21, s50, v20                                // 000000002CAC: 682A2832
	v_add_u32_e32 v22, s50, v21                                // 000000002CB0: 682C2A32
	s_mul_i32 s50, s47, s37                                    // 000000002CB4: 9232252F
	v_lshlrev_b32_e32 v5, 2, v0                                // 000000002CB8: 240A0082
	v_add_u32_e32 v23, s50, v5                                 // 000000002CBC: 682E0A32
	s_mul_i32 s50, s45, 48                                     // 000000002CC0: 9232B02D
	s_add_i32 s77, s50, s47                                    // 000000002CC4: 814D2F32
	s_cmp_lt_i32 s42, s43                                      // 000000002CC8: BF042B2A
	s_cbranch_scc0 label_063B                                  // 000000002CCC: BF8403C7

0000000000002cd0 <label_0274>:
	s_waitcnt vmcnt(13) lgkmcnt(0)                             // 000000002CD0: BF8C007D
	s_barrier                                                  // 000000002CD4: BF8A0000
	v_mfma_f32_16x16x32_fp8_fp8 v[40:43], a[0:1], a[48:49], 0  // 000000002CD8: D3F30028 1A026100
	s_add_u32 m0, 0, s58                                       // 000000002CE0: 807C3A80
	buffer_load_dword v32, s[4:7], 0 offen lds                 // 000000002CE4: E0511000 80010020
	v_mfma_f32_16x16x32_fp8_fp8 v[40:43], a[2:3], a[50:51], v[40:43]// 000000002CEC: D3F30028 1CA26502
	ds_read_b128 a[72:75], v38 offset:6272                     // 000000002CF4: DBFE1880 48000026
	v_mfma_f32_16x16x32_fp8_fp8 v[40:43], a[4:5], a[52:53], v[40:43]// 000000002CFC: D3F30028 1CA26904
	s_add_u32 m0, 0x100, s58                                   // 000000002D04: 807C3AFF 00000100
	buffer_load_dword v33, s[4:7], 0 offen lds                 // 000000002D0C: E0511000 80010021
	v_mfma_f32_16x16x32_fp8_fp8 v[40:43], a[6:7], a[54:55], v[40:43]// 000000002D14: D3F30028 1CA26D06
	ds_read_b128 a[76:79], v38 offset:6336                     // 000000002D1C: DBFE18C0 4C000026
	v_mul_f32_e32 v4, v106, v88                                // 000000002D24: 0A08B16A
	v_mov_b32_e32 v5, v4                                       // 000000002D28: 7E0A0304
	v_mfma_f32_16x16x32_fp8_fp8 v[44:47], a[8:9], a[48:49], 0  // 000000002D2C: D3F3002C 1A026108
	buffer_load_dwordx4 a[32:35], v28, s[8:11], 0 offen        // 000000002D34: E05C1000 8082201C
	v_mfma_f32_16x16x32_fp8_fp8 v[44:47], a[10:11], a[50:51], v[44:47]// 000000002D3C: D3F3002C 1CB2650A
	buffer_load_dword v88, v109, s[20:23], 0 offen             // 000000002D44: E0501000 8005586D
	v_mfma_f32_16x16x32_fp8_fp8 v[44:47], a[12:13], a[52:53], v[44:47]// 000000002D4C: D3F3002C 1CB2690C
	buffer_load_dwordx4 a[36:39], v29, s[8:11], 0 offen        // 000000002D54: E05C1000 8082241D
	v_mfma_f32_16x16x32_fp8_fp8 v[44:47], a[14:15], a[54:55], v[44:47]// 000000002D5C: D3F3002C 1CB26D0E
	v_pk_fma_f32 v[64:65], v[4:5], v[40:41], v[64:65]          // 000000002D64: D3B04040 1D025104
	v_pk_fma_f32 v[66:67], v[4:5], v[42:43], v[66:67]          // 000000002D6C: D3B04042 1D0A5504
	v_pk_fma_f32 v[68:69], v[4:5], v[44:45], v[68:69]          // 000000002D74: D3B04044 1D125904
	v_pk_fma_f32 v[70:71], v[4:5], v[46:47], v[70:71]          // 000000002D7C: D3B04046 1D1A5D04
	v_mfma_f32_16x16x32_fp8_fp8 v[48:51], a[0:1], a[56:57], 0  // 000000002D84: D3F30030 1A027100
	s_add_u32 m0, 0x200, s58                                   // 000000002D8C: 807C3AFF 00000200
	buffer_load_dword v34, s[4:7], 0 offen lds                 // 000000002D94: E0511000 80010022
	v_mfma_f32_16x16x32_fp8_fp8 v[48:51], a[2:3], a[58:59], v[48:51]// 000000002D9C: D3F30030 1CC27502
	ds_read_b128 a[80:83], v38 offset:6784                     // 000000002DA4: DBFE1A80 50000026
	v_mfma_f32_16x16x32_fp8_fp8 v[48:51], a[4:5], a[60:61], v[48:51]// 000000002DAC: D3F30030 1CC27904
	s_add_u32 m0, 0x300, s58                                   // 000000002DB4: 807C3AFF 00000300
	buffer_load_dword v35, s[4:7], 0 offen lds                 // 000000002DBC: E0511000 80010023
	v_mfma_f32_16x16x32_fp8_fp8 v[48:51], a[6:7], a[62:63], v[48:51]// 000000002DC4: D3F30030 1CC27D06
	ds_read_b128 a[84:87], v38 offset:6848                     // 000000002DCC: DBFE1AC0 54000026
	v_mul_f32_e32 v4, v106, v89                                // 000000002DD4: 0A08B36A
	v_mov_b32_e32 v5, v4                                       // 000000002DD8: 7E0A0304
	v_mfma_f32_16x16x32_fp8_fp8 v[52:55], a[8:9], a[56:57], 0  // 000000002DDC: D3F30034 1A027108
	buffer_load_dwordx4 a[40:43], v30, s[8:11], 0 offen        // 000000002DE4: E05C1000 8082281E
	v_mfma_f32_16x16x32_fp8_fp8 v[52:55], a[10:11], a[58:59], v[52:55]// 000000002DEC: D3F30034 1CD2750A
	buffer_load_dword v89, v110, s[20:23], 0 offen             // 000000002DF4: E0501000 8005596E
	v_mfma_f32_16x16x32_fp8_fp8 v[52:55], a[12:13], a[60:61], v[52:55]// 000000002DFC: D3F30034 1CD2790C
	buffer_load_dwordx4 a[44:47], v31, s[8:11], 0 offen        // 000000002E04: E05C1000 80822C1F
	v_mfma_f32_16x16x32_fp8_fp8 v[52:55], a[14:15], a[62:63], v[52:55]// 000000002E0C: D3F30034 1CD27D0E
	v_pk_fma_f32 v[72:73], v[4:5], v[48:49], v[72:73]          // 000000002E14: D3B04048 1D226104
	v_pk_fma_f32 v[74:75], v[4:5], v[50:51], v[74:75]          // 000000002E1C: D3B0404A 1D2A6504
	v_pk_fma_f32 v[76:77], v[4:5], v[52:53], v[76:77]          // 000000002E24: D3B0404C 1D326904
	v_pk_fma_f32 v[78:79], v[4:5], v[54:55], v[78:79]          // 000000002E2C: D3B0404E 1D3A6D04
	v_mfma_f32_16x16x32_fp8_fp8 v[56:59], a[0:1], a[64:65], 0  // 000000002E34: D3F30038 1A028100
	s_add_u32 m0, 0x400, s58                                   // 000000002E3C: 807C3AFF 00000400
	buffer_load_dword v36, s[4:7], 0 offen lds                 // 000000002E44: E0511000 80010024
	v_mfma_f32_16x16x32_fp8_fp8 v[56:59], a[2:3], a[66:67], v[56:59]// 000000002E4C: D3F30038 1CE28502
	ds_read_b128 a[88:91], v38 offset:7296                     // 000000002E54: DBFE1C80 58000026
	v_mfma_f32_16x16x32_fp8_fp8 v[56:59], a[4:5], a[68:69], v[56:59]// 000000002E5C: D3F30038 1CE28904
	s_add_u32 m0, 0x500, s58                                   // 000000002E64: 807C3AFF 00000500
	buffer_load_dword v37, s[4:7], 0 offen lds                 // 000000002E6C: E0511000 80010025
	v_mfma_f32_16x16x32_fp8_fp8 v[56:59], a[6:7], a[70:71], v[56:59]// 000000002E74: D3F30038 1CE28D06
	ds_read_b128 a[92:95], v38 offset:7360                     // 000000002E7C: DBFE1CC0 5C000026
	v_mul_f32_e32 v4, v106, v90                                // 000000002E84: 0A08B56A
	v_mov_b32_e32 v5, v4                                       // 000000002E88: 7E0A0304
	v_mfma_f32_16x16x32_fp8_fp8 v[60:63], a[8:9], a[64:65], 0  // 000000002E8C: D3F3003C 1A028108
	v_mfma_f32_16x16x32_fp8_fp8 v[60:63], a[10:11], a[66:67], v[60:63]// 000000002E94: D3F3003C 1CF2850A
	buffer_load_dword v90, v111, s[20:23], 0 offen             // 000000002E9C: E0501000 80055A6F
	s_add_u32 s50, 0x200, s42                                  // 000000002EA4: 80322AFF 00000200
	s_cmp_lt_u32 s50, s43                                      // 000000002EAC: BF0A2B32
	s_cselect_b32 s54, s54, 0                                  // 000000002EB0: 85368036
	s_add_u32 s50, 0x180, s42                                  // 000000002EB4: 80322AFF 00000180
	s_cmp_lt_u32 s50, s43                                      // 000000002EBC: BF0A2B32
	s_cselect_b32 s55, s55, 0                                  // 000000002EC0: 85378037
	s_add_u32 s50, 0x200, s42                                  // 000000002EC4: 80322AFF 00000200
	s_cmp_lt_u32 s50, s43                                      // 000000002ECC: BF0A2B32
	s_cselect_b32 s56, s56, 0                                  // 000000002ED0: 85388038
	s_add_u32 s50, 0x180, s42                                  // 000000002ED4: 80322AFF 00000180
	s_cmp_lt_u32 s50, s43                                      // 000000002EDC: BF0A2B32
	s_cselect_b32 s57, s57, 0                                  // 000000002EE0: 85398039
	v_mfma_f32_16x16x32_fp8_fp8 v[60:63], a[12:13], a[68:69], v[60:63]// 000000002EE4: D3F3003C 1CF2890C
	v_mfma_f32_16x16x32_fp8_fp8 v[60:63], a[14:15], a[70:71], v[60:63]// 000000002EEC: D3F3003C 1CF28D0E
	buffer_load_dword v108, v115, s[24:27], 0 offen            // 000000002EF4: E0501000 80066C73
	s_add_u32 s4, s54, s4                                      // 000000002EFC: 80040436
	s_addc_u32 s5, 0, s5                                       // 000000002F00: 82050580
	s_sub_u32 s6, s6, s54                                      // 000000002F04: 80863606
	s_add_u32 s8, s55, s8                                      // 000000002F08: 80080837
	s_addc_u32 s9, 0, s9                                       // 000000002F0C: 82090980
	s_sub_u32 s10, s10, s55                                    // 000000002F10: 808A370A
	s_add_u32 s20, s56, s20                                    // 000000002F14: 80141438
	s_addc_u32 s21, 0, s21                                     // 000000002F18: 82151580
	s_add_u32 s24, s57, s24                                    // 000000002F1C: 80181839
	s_addc_u32 s25, 0, s25                                     // 000000002F20: 82191980
	s_sub_u32 s26, s26, s57                                    // 000000002F24: 809A391A
	v_pk_fma_f32 v[80:81], v[4:5], v[56:57], v[80:81]          // 000000002F28: D3B04050 1D427104
	v_pk_fma_f32 v[82:83], v[4:5], v[58:59], v[82:83]          // 000000002F30: D3B04052 1D4A7504
	v_pk_fma_f32 v[84:85], v[4:5], v[60:61], v[84:85]          // 000000002F38: D3B04054 1D527904
	v_pk_fma_f32 v[86:87], v[4:5], v[62:63], v[86:87]          // 000000002F40: D3B04056 1D5A7D04
	s_addk_i32 s42, 0x80                                       // 000000002F48: B72A0080
	s_cmp_lt_i32 s42, s43                                      // 000000002F4C: BF042B2A
	s_cbranch_scc0 label_063B                                  // 000000002F50: BF840326
	s_waitcnt vmcnt(13) lgkmcnt(0)                             // 000000002F54: BF8C007D
	s_barrier                                                  // 000000002F58: BF8A0000
	v_mfma_f32_16x16x32_fp8_fp8 v[40:43], a[16:17], a[72:73], 0// 000000002F5C: D3F30028 1A029110
	s_add_u32 m0, 0, s59                                       // 000000002F64: 807C3B80
	buffer_load_dword v32, s[4:7], 0 offen lds                 // 000000002F68: E0511000 80010020
	v_mfma_f32_16x16x32_fp8_fp8 v[40:43], a[18:19], a[74:75], v[40:43]// 000000002F70: D3F30028 1CA29512
	ds_read_b128 a[48:51], v38 offset:12544                    // 000000002F78: DBFE3100 30000026
	v_mfma_f32_16x16x32_fp8_fp8 v[40:43], a[20:21], a[76:77], v[40:43]// 000000002F80: D3F30028 1CA29914
	s_add_u32 m0, 0x100, s59                                   // 000000002F88: 807C3BFF 00000100
	buffer_load_dword v33, s[4:7], 0 offen lds                 // 000000002F90: E0511000 80010021
	v_mfma_f32_16x16x32_fp8_fp8 v[40:43], a[22:23], a[78:79], v[40:43]// 000000002F98: D3F30028 1CA29D16
	ds_read_b128 a[52:55], v38 offset:12608                    // 000000002FA0: DBFE3140 34000026
	v_mul_f32_e32 v4, v107, v91                                // 000000002FA8: 0A08B76B
	v_mov_b32_e32 v5, v4                                       // 000000002FAC: 7E0A0304
	v_mfma_f32_16x16x32_fp8_fp8 v[44:47], a[24:25], a[72:73], 0// 000000002FB0: D3F3002C 1A029118
	buffer_load_dwordx4 a[0:3], v28, s[8:11], 0 offen          // 000000002FB8: E05C1000 8082001C
	v_mfma_f32_16x16x32_fp8_fp8 v[44:47], a[26:27], a[74:75], v[44:47]// 000000002FC0: D3F3002C 1CB2951A
	buffer_load_dword v91, v109, s[20:23], 0 offen             // 000000002FC8: E0501000 80055B6D
	v_mfma_f32_16x16x32_fp8_fp8 v[44:47], a[28:29], a[76:77], v[44:47]// 000000002FD0: D3F3002C 1CB2991C
	buffer_load_dwordx4 a[4:7], v29, s[8:11], 0 offen          // 000000002FD8: E05C1000 8082041D
	v_mfma_f32_16x16x32_fp8_fp8 v[44:47], a[30:31], a[78:79], v[44:47]// 000000002FE0: D3F3002C 1CB29D1E
	v_pk_fma_f32 v[64:65], v[4:5], v[40:41], v[64:65]          // 000000002FE8: D3B04040 1D025104
	v_pk_fma_f32 v[66:67], v[4:5], v[42:43], v[66:67]          // 000000002FF0: D3B04042 1D0A5504
	v_pk_fma_f32 v[68:69], v[4:5], v[44:45], v[68:69]          // 000000002FF8: D3B04044 1D125904
	v_pk_fma_f32 v[70:71], v[4:5], v[46:47], v[70:71]          // 000000003000: D3B04046 1D1A5D04
	v_mfma_f32_16x16x32_fp8_fp8 v[48:51], a[16:17], a[80:81], 0// 000000003008: D3F30030 1A02A110
	s_add_u32 m0, 0x200, s59                                   // 000000003010: 807C3BFF 00000200
	buffer_load_dword v34, s[4:7], 0 offen lds                 // 000000003018: E0511000 80010022
	v_mfma_f32_16x16x32_fp8_fp8 v[48:51], a[18:19], a[82:83], v[48:51]// 000000003020: D3F30030 1CC2A512
	ds_read_b128 a[56:59], v38 offset:13056                    // 000000003028: DBFE3300 38000026
	v_mfma_f32_16x16x32_fp8_fp8 v[48:51], a[20:21], a[84:85], v[48:51]// 000000003030: D3F30030 1CC2A914
	s_add_u32 m0, 0x300, s59                                   // 000000003038: 807C3BFF 00000300
	buffer_load_dword v35, s[4:7], 0 offen lds                 // 000000003040: E0511000 80010023
	v_mfma_f32_16x16x32_fp8_fp8 v[48:51], a[22:23], a[86:87], v[48:51]// 000000003048: D3F30030 1CC2AD16
	ds_read_b128 a[60:63], v38 offset:13120                    // 000000003050: DBFE3340 3C000026
	v_mul_f32_e32 v4, v107, v92                                // 000000003058: 0A08B96B
	v_mov_b32_e32 v5, v4                                       // 00000000305C: 7E0A0304
	v_mfma_f32_16x16x32_fp8_fp8 v[52:55], a[24:25], a[80:81], 0// 000000003060: D3F30034 1A02A118
	buffer_load_dwordx4 a[8:11], v30, s[8:11], 0 offen         // 000000003068: E05C1000 8082081E
	v_mfma_f32_16x16x32_fp8_fp8 v[52:55], a[26:27], a[82:83], v[52:55]// 000000003070: D3F30034 1CD2A51A
	buffer_load_dword v92, v110, s[20:23], 0 offen             // 000000003078: E0501000 80055C6E
	v_mfma_f32_16x16x32_fp8_fp8 v[52:55], a[28:29], a[84:85], v[52:55]// 000000003080: D3F30034 1CD2A91C
	buffer_load_dwordx4 a[12:15], v31, s[8:11], 0 offen        // 000000003088: E05C1000 80820C1F
	v_mfma_f32_16x16x32_fp8_fp8 v[52:55], a[30:31], a[86:87], v[52:55]// 000000003090: D3F30034 1CD2AD1E
	v_pk_fma_f32 v[72:73], v[4:5], v[48:49], v[72:73]          // 000000003098: D3B04048 1D226104
	v_pk_fma_f32 v[74:75], v[4:5], v[50:51], v[74:75]          // 0000000030A0: D3B0404A 1D2A6504
	v_pk_fma_f32 v[76:77], v[4:5], v[52:53], v[76:77]          // 0000000030A8: D3B0404C 1D326904
	v_pk_fma_f32 v[78:79], v[4:5], v[54:55], v[78:79]          // 0000000030B0: D3B0404E 1D3A6D04
	v_mfma_f32_16x16x32_fp8_fp8 v[56:59], a[16:17], a[88:89], 0// 0000000030B8: D3F30038 1A02B110
	s_add_u32 m0, 0x400, s59                                   // 0000000030C0: 807C3BFF 00000400
	buffer_load_dword v36, s[4:7], 0 offen lds                 // 0000000030C8: E0511000 80010024
	v_mfma_f32_16x16x32_fp8_fp8 v[56:59], a[18:19], a[90:91], v[56:59]// 0000000030D0: D3F30038 1CE2B512
	ds_read_b128 a[64:67], v38 offset:13568                    // 0000000030D8: DBFE3500 40000026
	v_mfma_f32_16x16x32_fp8_fp8 v[56:59], a[20:21], a[92:93], v[56:59]// 0000000030E0: D3F30038 1CE2B914
	s_add_u32 m0, 0x500, s59                                   // 0000000030E8: 807C3BFF 00000500
	buffer_load_dword v37, s[4:7], 0 offen lds                 // 0000000030F0: E0511000 80010025
	v_mfma_f32_16x16x32_fp8_fp8 v[56:59], a[22:23], a[94:95], v[56:59]// 0000000030F8: D3F30038 1CE2BD16
	ds_read_b128 a[68:71], v38 offset:13632                    // 000000003100: DBFE3540 44000026
	v_mul_f32_e32 v4, v107, v93                                // 000000003108: 0A08BB6B
	v_mov_b32_e32 v5, v4                                       // 00000000310C: 7E0A0304
	v_mfma_f32_16x16x32_fp8_fp8 v[60:63], a[24:25], a[88:89], 0// 000000003110: D3F3003C 1A02B118
	v_mfma_f32_16x16x32_fp8_fp8 v[60:63], a[26:27], a[90:91], v[60:63]// 000000003118: D3F3003C 1CF2B51A
	buffer_load_dword v93, v111, s[20:23], 0 offen             // 000000003120: E0501000 80055D6F
	s_add_u32 s50, 0x200, s42                                  // 000000003128: 80322AFF 00000200
	s_cmp_lt_u32 s50, s43                                      // 000000003130: BF0A2B32
	s_cselect_b32 s54, s54, 0                                  // 000000003134: 85368036
	s_add_u32 s50, 0x180, s42                                  // 000000003138: 80322AFF 00000180
	s_cmp_lt_u32 s50, s43                                      // 000000003140: BF0A2B32
	s_cselect_b32 s55, s55, 0                                  // 000000003144: 85378037
	;; [unrolled: 3-line block ×4, first 2 shown]
	v_mfma_f32_16x16x32_fp8_fp8 v[60:63], a[28:29], a[92:93], v[60:63]// 000000003168: D3F3003C 1CF2B91C
	v_mfma_f32_16x16x32_fp8_fp8 v[60:63], a[30:31], a[94:95], v[60:63]// 000000003170: D3F3003C 1CF2BD1E
	buffer_load_dword v106, v115, s[24:27], 0 offen            // 000000003178: E0501000 80066A73
	s_add_u32 s4, s54, s4                                      // 000000003180: 80040436
	s_addc_u32 s5, 0, s5                                       // 000000003184: 82050580
	s_sub_u32 s6, s6, s54                                      // 000000003188: 80863606
	s_add_u32 s8, s55, s8                                      // 00000000318C: 80080837
	s_addc_u32 s9, 0, s9                                       // 000000003190: 82090980
	s_sub_u32 s10, s10, s55                                    // 000000003194: 808A370A
	s_add_u32 s20, s56, s20                                    // 000000003198: 80141438
	s_addc_u32 s21, 0, s21                                     // 00000000319C: 82151580
	s_add_u32 s24, s57, s24                                    // 0000000031A0: 80181839
	s_addc_u32 s25, 0, s25                                     // 0000000031A4: 82191980
	s_sub_u32 s26, s26, s57                                    // 0000000031A8: 809A391A
	v_pk_fma_f32 v[80:81], v[4:5], v[56:57], v[80:81]          // 0000000031AC: D3B04050 1D427104
	v_pk_fma_f32 v[82:83], v[4:5], v[58:59], v[82:83]          // 0000000031B4: D3B04052 1D4A7504
	v_pk_fma_f32 v[84:85], v[4:5], v[60:61], v[84:85]          // 0000000031BC: D3B04054 1D527904
	v_pk_fma_f32 v[86:87], v[4:5], v[62:63], v[86:87]          // 0000000031C4: D3B04056 1D5A7D04
	s_addk_i32 s42, 0x80                                       // 0000000031CC: B72A0080
	s_cmp_lt_i32 s42, s43                                      // 0000000031D0: BF042B2A
	s_cbranch_scc0 label_063B                                  // 0000000031D4: BF840285
	s_waitcnt vmcnt(13) lgkmcnt(0)                             // 0000000031D8: BF8C007D
	s_barrier                                                  // 0000000031DC: BF8A0000
	v_mfma_f32_16x16x32_fp8_fp8 v[40:43], a[32:33], a[48:49], 0// 0000000031E0: D3F30028 1A026120
	s_add_u32 m0, 0, s60                                       // 0000000031E8: 807C3C80
	buffer_load_dword v32, s[4:7], 0 offen lds                 // 0000000031EC: E0511000 80010020
	v_mfma_f32_16x16x32_fp8_fp8 v[40:43], a[34:35], a[50:51], v[40:43]// 0000000031F4: D3F30028 1CA26522
	ds_read_b128 a[72:75], v38                                 // 0000000031FC: DBFE0000 48000026
	v_mfma_f32_16x16x32_fp8_fp8 v[40:43], a[36:37], a[52:53], v[40:43]// 000000003204: D3F30028 1CA26924
	s_add_u32 m0, 0x100, s60                                   // 00000000320C: 807C3CFF 00000100
	buffer_load_dword v33, s[4:7], 0 offen lds                 // 000000003214: E0511000 80010021
	v_mfma_f32_16x16x32_fp8_fp8 v[40:43], a[38:39], a[54:55], v[40:43]// 00000000321C: D3F30028 1CA26D26
	ds_read_b128 a[76:79], v38 offset:64                       // 000000003224: DBFE0040 4C000026
	v_mul_f32_e32 v4, v108, v94                                // 00000000322C: 0A08BD6C
	v_mov_b32_e32 v5, v4                                       // 000000003230: 7E0A0304
	v_mfma_f32_16x16x32_fp8_fp8 v[44:47], a[40:41], a[48:49], 0// 000000003234: D3F3002C 1A026128
	buffer_load_dwordx4 a[16:19], v28, s[8:11], 0 offen        // 00000000323C: E05C1000 8082101C
	v_mfma_f32_16x16x32_fp8_fp8 v[44:47], a[42:43], a[50:51], v[44:47]// 000000003244: D3F3002C 1CB2652A
	buffer_load_dword v94, v109, s[20:23], 0 offen             // 00000000324C: E0501000 80055E6D
	v_mfma_f32_16x16x32_fp8_fp8 v[44:47], a[44:45], a[52:53], v[44:47]// 000000003254: D3F3002C 1CB2692C
	buffer_load_dwordx4 a[20:23], v29, s[8:11], 0 offen        // 00000000325C: E05C1000 8082141D
	v_mfma_f32_16x16x32_fp8_fp8 v[44:47], a[46:47], a[54:55], v[44:47]// 000000003264: D3F3002C 1CB26D2E
	v_pk_fma_f32 v[64:65], v[4:5], v[40:41], v[64:65]          // 00000000326C: D3B04040 1D025104
	v_pk_fma_f32 v[66:67], v[4:5], v[42:43], v[66:67]          // 000000003274: D3B04042 1D0A5504
	v_pk_fma_f32 v[68:69], v[4:5], v[44:45], v[68:69]          // 00000000327C: D3B04044 1D125904
	v_pk_fma_f32 v[70:71], v[4:5], v[46:47], v[70:71]          // 000000003284: D3B04046 1D1A5D04
	v_mfma_f32_16x16x32_fp8_fp8 v[48:51], a[32:33], a[56:57], 0// 00000000328C: D3F30030 1A027120
	s_add_u32 m0, 0x200, s60                                   // 000000003294: 807C3CFF 00000200
	buffer_load_dword v34, s[4:7], 0 offen lds                 // 00000000329C: E0511000 80010022
	v_mfma_f32_16x16x32_fp8_fp8 v[48:51], a[34:35], a[58:59], v[48:51]// 0000000032A4: D3F30030 1CC27522
	ds_read_b128 a[80:83], v38 offset:512                      // 0000000032AC: DBFE0200 50000026
	v_mfma_f32_16x16x32_fp8_fp8 v[48:51], a[36:37], a[60:61], v[48:51]// 0000000032B4: D3F30030 1CC27924
	s_add_u32 m0, 0x300, s60                                   // 0000000032BC: 807C3CFF 00000300
	buffer_load_dword v35, s[4:7], 0 offen lds                 // 0000000032C4: E0511000 80010023
	v_mfma_f32_16x16x32_fp8_fp8 v[48:51], a[38:39], a[62:63], v[48:51]// 0000000032CC: D3F30030 1CC27D26
	ds_read_b128 a[84:87], v38 offset:576                      // 0000000032D4: DBFE0240 54000026
	v_mul_f32_e32 v4, v108, v95                                // 0000000032DC: 0A08BF6C
	v_mov_b32_e32 v5, v4                                       // 0000000032E0: 7E0A0304
	v_mfma_f32_16x16x32_fp8_fp8 v[52:55], a[40:41], a[56:57], 0// 0000000032E4: D3F30034 1A027128
	buffer_load_dwordx4 a[24:27], v30, s[8:11], 0 offen        // 0000000032EC: E05C1000 8082181E
	v_mfma_f32_16x16x32_fp8_fp8 v[52:55], a[42:43], a[58:59], v[52:55]// 0000000032F4: D3F30034 1CD2752A
	buffer_load_dword v95, v110, s[20:23], 0 offen             // 0000000032FC: E0501000 80055F6E
	v_mfma_f32_16x16x32_fp8_fp8 v[52:55], a[44:45], a[60:61], v[52:55]// 000000003304: D3F30034 1CD2792C
	buffer_load_dwordx4 a[28:31], v31, s[8:11], 0 offen        // 00000000330C: E05C1000 80821C1F
	v_mfma_f32_16x16x32_fp8_fp8 v[52:55], a[46:47], a[62:63], v[52:55]// 000000003314: D3F30034 1CD27D2E
	v_pk_fma_f32 v[72:73], v[4:5], v[48:49], v[72:73]          // 00000000331C: D3B04048 1D226104
	v_pk_fma_f32 v[74:75], v[4:5], v[50:51], v[74:75]          // 000000003324: D3B0404A 1D2A6504
	v_pk_fma_f32 v[76:77], v[4:5], v[52:53], v[76:77]          // 00000000332C: D3B0404C 1D326904
	v_pk_fma_f32 v[78:79], v[4:5], v[54:55], v[78:79]          // 000000003334: D3B0404E 1D3A6D04
	v_mfma_f32_16x16x32_fp8_fp8 v[56:59], a[32:33], a[64:65], 0// 00000000333C: D3F30038 1A028120
	s_add_u32 m0, 0x400, s60                                   // 000000003344: 807C3CFF 00000400
	buffer_load_dword v36, s[4:7], 0 offen lds                 // 00000000334C: E0511000 80010024
	v_mfma_f32_16x16x32_fp8_fp8 v[56:59], a[34:35], a[66:67], v[56:59]// 000000003354: D3F30038 1CE28522
	ds_read_b128 a[88:91], v38 offset:1024                     // 00000000335C: DBFE0400 58000026
	v_mfma_f32_16x16x32_fp8_fp8 v[56:59], a[36:37], a[68:69], v[56:59]// 000000003364: D3F30038 1CE28924
	s_add_u32 m0, 0x500, s60                                   // 00000000336C: 807C3CFF 00000500
	buffer_load_dword v37, s[4:7], 0 offen lds                 // 000000003374: E0511000 80010025
	v_mfma_f32_16x16x32_fp8_fp8 v[56:59], a[38:39], a[70:71], v[56:59]// 00000000337C: D3F30038 1CE28D26
	ds_read_b128 a[92:95], v38 offset:1088                     // 000000003384: DBFE0440 5C000026
	v_mul_f32_e32 v4, v108, v96                                // 00000000338C: 0A08C16C
	v_mov_b32_e32 v5, v4                                       // 000000003390: 7E0A0304
	v_mfma_f32_16x16x32_fp8_fp8 v[60:63], a[40:41], a[64:65], 0// 000000003394: D3F3003C 1A028128
	v_mfma_f32_16x16x32_fp8_fp8 v[60:63], a[42:43], a[66:67], v[60:63]// 00000000339C: D3F3003C 1CF2852A
	buffer_load_dword v96, v111, s[20:23], 0 offen             // 0000000033A4: E0501000 8005606F
	s_add_u32 s50, 0x200, s42                                  // 0000000033AC: 80322AFF 00000200
	s_cmp_lt_u32 s50, s43                                      // 0000000033B4: BF0A2B32
	s_cselect_b32 s54, s54, 0                                  // 0000000033B8: 85368036
	s_add_u32 s50, 0x180, s42                                  // 0000000033BC: 80322AFF 00000180
	s_cmp_lt_u32 s50, s43                                      // 0000000033C4: BF0A2B32
	s_cselect_b32 s55, s55, 0                                  // 0000000033C8: 85378037
	s_add_u32 s50, 0x200, s42                                  // 0000000033CC: 80322AFF 00000200
	s_cmp_lt_u32 s50, s43                                      // 0000000033D4: BF0A2B32
	s_cselect_b32 s56, s56, 0                                  // 0000000033D8: 85388038
	s_add_u32 s50, 0x180, s42                                  // 0000000033DC: 80322AFF 00000180
	s_cmp_lt_u32 s50, s43                                      // 0000000033E4: BF0A2B32
	s_cselect_b32 s57, s57, 0                                  // 0000000033E8: 85398039
	v_mfma_f32_16x16x32_fp8_fp8 v[60:63], a[44:45], a[68:69], v[60:63]// 0000000033EC: D3F3003C 1CF2892C
	v_mfma_f32_16x16x32_fp8_fp8 v[60:63], a[46:47], a[70:71], v[60:63]// 0000000033F4: D3F3003C 1CF28D2E
	buffer_load_dword v107, v115, s[24:27], 0 offen            // 0000000033FC: E0501000 80066B73
	s_add_u32 s4, s54, s4                                      // 000000003404: 80040436
	s_addc_u32 s5, 0, s5                                       // 000000003408: 82050580
	s_sub_u32 s6, s6, s54                                      // 00000000340C: 80863606
	s_add_u32 s8, s55, s8                                      // 000000003410: 80080837
	s_addc_u32 s9, 0, s9                                       // 000000003414: 82090980
	s_sub_u32 s10, s10, s55                                    // 000000003418: 808A370A
	s_add_u32 s20, s56, s20                                    // 00000000341C: 80141438
	s_addc_u32 s21, 0, s21                                     // 000000003420: 82151580
	s_add_u32 s24, s57, s24                                    // 000000003424: 80181839
	s_addc_u32 s25, 0, s25                                     // 000000003428: 82191980
	s_sub_u32 s26, s26, s57                                    // 00000000342C: 809A391A
	v_pk_fma_f32 v[80:81], v[4:5], v[56:57], v[80:81]          // 000000003430: D3B04050 1D427104
	v_pk_fma_f32 v[82:83], v[4:5], v[58:59], v[82:83]          // 000000003438: D3B04052 1D4A7504
	v_pk_fma_f32 v[84:85], v[4:5], v[60:61], v[84:85]          // 000000003440: D3B04054 1D527904
	v_pk_fma_f32 v[86:87], v[4:5], v[62:63], v[86:87]          // 000000003448: D3B04056 1D5A7D04
	s_addk_i32 s42, 0x80                                       // 000000003450: B72A0080
	s_cmp_lt_i32 s42, s43                                      // 000000003454: BF042B2A
	s_cbranch_scc0 label_063B                                  // 000000003458: BF8401E4
	s_waitcnt vmcnt(13) lgkmcnt(0)                             // 00000000345C: BF8C007D
	s_barrier                                                  // 000000003460: BF8A0000
	v_mfma_f32_16x16x32_fp8_fp8 v[40:43], a[0:1], a[72:73], 0  // 000000003464: D3F30028 1A029100
	s_add_u32 m0, 0, s58                                       // 00000000346C: 807C3A80
	buffer_load_dword v32, s[4:7], 0 offen lds                 // 000000003470: E0511000 80010020
	v_mfma_f32_16x16x32_fp8_fp8 v[40:43], a[2:3], a[74:75], v[40:43]// 000000003478: D3F30028 1CA29502
	ds_read_b128 a[48:51], v38 offset:6272                     // 000000003480: DBFE1880 30000026
	v_mfma_f32_16x16x32_fp8_fp8 v[40:43], a[4:5], a[76:77], v[40:43]// 000000003488: D3F30028 1CA29904
	s_add_u32 m0, 0x100, s58                                   // 000000003490: 807C3AFF 00000100
	buffer_load_dword v33, s[4:7], 0 offen lds                 // 000000003498: E0511000 80010021
	v_mfma_f32_16x16x32_fp8_fp8 v[40:43], a[6:7], a[78:79], v[40:43]// 0000000034A0: D3F30028 1CA29D06
	ds_read_b128 a[52:55], v38 offset:6336                     // 0000000034A8: DBFE18C0 34000026
	v_mul_f32_e32 v4, v106, v88                                // 0000000034B0: 0A08B16A
	v_mov_b32_e32 v5, v4                                       // 0000000034B4: 7E0A0304
	v_mfma_f32_16x16x32_fp8_fp8 v[44:47], a[8:9], a[72:73], 0  // 0000000034B8: D3F3002C 1A029108
	buffer_load_dwordx4 a[32:35], v28, s[8:11], 0 offen        // 0000000034C0: E05C1000 8082201C
	v_mfma_f32_16x16x32_fp8_fp8 v[44:47], a[10:11], a[74:75], v[44:47]// 0000000034C8: D3F3002C 1CB2950A
	buffer_load_dword v88, v109, s[20:23], 0 offen             // 0000000034D0: E0501000 8005586D
	v_mfma_f32_16x16x32_fp8_fp8 v[44:47], a[12:13], a[76:77], v[44:47]// 0000000034D8: D3F3002C 1CB2990C
	buffer_load_dwordx4 a[36:39], v29, s[8:11], 0 offen        // 0000000034E0: E05C1000 8082241D
	v_mfma_f32_16x16x32_fp8_fp8 v[44:47], a[14:15], a[78:79], v[44:47]// 0000000034E8: D3F3002C 1CB29D0E
	v_pk_fma_f32 v[64:65], v[4:5], v[40:41], v[64:65]          // 0000000034F0: D3B04040 1D025104
	v_pk_fma_f32 v[66:67], v[4:5], v[42:43], v[66:67]          // 0000000034F8: D3B04042 1D0A5504
	v_pk_fma_f32 v[68:69], v[4:5], v[44:45], v[68:69]          // 000000003500: D3B04044 1D125904
	v_pk_fma_f32 v[70:71], v[4:5], v[46:47], v[70:71]          // 000000003508: D3B04046 1D1A5D04
	v_mfma_f32_16x16x32_fp8_fp8 v[48:51], a[0:1], a[80:81], 0  // 000000003510: D3F30030 1A02A100
	s_add_u32 m0, 0x200, s58                                   // 000000003518: 807C3AFF 00000200
	buffer_load_dword v34, s[4:7], 0 offen lds                 // 000000003520: E0511000 80010022
	v_mfma_f32_16x16x32_fp8_fp8 v[48:51], a[2:3], a[82:83], v[48:51]// 000000003528: D3F30030 1CC2A502
	ds_read_b128 a[56:59], v38 offset:6784                     // 000000003530: DBFE1A80 38000026
	v_mfma_f32_16x16x32_fp8_fp8 v[48:51], a[4:5], a[84:85], v[48:51]// 000000003538: D3F30030 1CC2A904
	s_add_u32 m0, 0x300, s58                                   // 000000003540: 807C3AFF 00000300
	buffer_load_dword v35, s[4:7], 0 offen lds                 // 000000003548: E0511000 80010023
	v_mfma_f32_16x16x32_fp8_fp8 v[48:51], a[6:7], a[86:87], v[48:51]// 000000003550: D3F30030 1CC2AD06
	ds_read_b128 a[60:63], v38 offset:6848                     // 000000003558: DBFE1AC0 3C000026
	v_mul_f32_e32 v4, v106, v89                                // 000000003560: 0A08B36A
	v_mov_b32_e32 v5, v4                                       // 000000003564: 7E0A0304
	v_mfma_f32_16x16x32_fp8_fp8 v[52:55], a[8:9], a[80:81], 0  // 000000003568: D3F30034 1A02A108
	buffer_load_dwordx4 a[40:43], v30, s[8:11], 0 offen        // 000000003570: E05C1000 8082281E
	v_mfma_f32_16x16x32_fp8_fp8 v[52:55], a[10:11], a[82:83], v[52:55]// 000000003578: D3F30034 1CD2A50A
	buffer_load_dword v89, v110, s[20:23], 0 offen             // 000000003580: E0501000 8005596E
	v_mfma_f32_16x16x32_fp8_fp8 v[52:55], a[12:13], a[84:85], v[52:55]// 000000003588: D3F30034 1CD2A90C
	buffer_load_dwordx4 a[44:47], v31, s[8:11], 0 offen        // 000000003590: E05C1000 80822C1F
	v_mfma_f32_16x16x32_fp8_fp8 v[52:55], a[14:15], a[86:87], v[52:55]// 000000003598: D3F30034 1CD2AD0E
	v_pk_fma_f32 v[72:73], v[4:5], v[48:49], v[72:73]          // 0000000035A0: D3B04048 1D226104
	v_pk_fma_f32 v[74:75], v[4:5], v[50:51], v[74:75]          // 0000000035A8: D3B0404A 1D2A6504
	v_pk_fma_f32 v[76:77], v[4:5], v[52:53], v[76:77]          // 0000000035B0: D3B0404C 1D326904
	v_pk_fma_f32 v[78:79], v[4:5], v[54:55], v[78:79]          // 0000000035B8: D3B0404E 1D3A6D04
	v_mfma_f32_16x16x32_fp8_fp8 v[56:59], a[0:1], a[88:89], 0  // 0000000035C0: D3F30038 1A02B100
	s_add_u32 m0, 0x400, s58                                   // 0000000035C8: 807C3AFF 00000400
	buffer_load_dword v36, s[4:7], 0 offen lds                 // 0000000035D0: E0511000 80010024
	v_mfma_f32_16x16x32_fp8_fp8 v[56:59], a[2:3], a[90:91], v[56:59]// 0000000035D8: D3F30038 1CE2B502
	ds_read_b128 a[64:67], v38 offset:7296                     // 0000000035E0: DBFE1C80 40000026
	v_mfma_f32_16x16x32_fp8_fp8 v[56:59], a[4:5], a[92:93], v[56:59]// 0000000035E8: D3F30038 1CE2B904
	s_add_u32 m0, 0x500, s58                                   // 0000000035F0: 807C3AFF 00000500
	buffer_load_dword v37, s[4:7], 0 offen lds                 // 0000000035F8: E0511000 80010025
	v_mfma_f32_16x16x32_fp8_fp8 v[56:59], a[6:7], a[94:95], v[56:59]// 000000003600: D3F30038 1CE2BD06
	ds_read_b128 a[68:71], v38 offset:7360                     // 000000003608: DBFE1CC0 44000026
	v_mul_f32_e32 v4, v106, v90                                // 000000003610: 0A08B56A
	v_mov_b32_e32 v5, v4                                       // 000000003614: 7E0A0304
	v_mfma_f32_16x16x32_fp8_fp8 v[60:63], a[8:9], a[88:89], 0  // 000000003618: D3F3003C 1A02B108
	v_mfma_f32_16x16x32_fp8_fp8 v[60:63], a[10:11], a[90:91], v[60:63]// 000000003620: D3F3003C 1CF2B50A
	buffer_load_dword v90, v111, s[20:23], 0 offen             // 000000003628: E0501000 80055A6F
	s_add_u32 s50, 0x200, s42                                  // 000000003630: 80322AFF 00000200
	s_cmp_lt_u32 s50, s43                                      // 000000003638: BF0A2B32
	s_cselect_b32 s54, s54, 0                                  // 00000000363C: 85368036
	s_add_u32 s50, 0x180, s42                                  // 000000003640: 80322AFF 00000180
	s_cmp_lt_u32 s50, s43                                      // 000000003648: BF0A2B32
	s_cselect_b32 s55, s55, 0                                  // 00000000364C: 85378037
	s_add_u32 s50, 0x200, s42                                  // 000000003650: 80322AFF 00000200
	s_cmp_lt_u32 s50, s43                                      // 000000003658: BF0A2B32
	s_cselect_b32 s56, s56, 0                                  // 00000000365C: 85388038
	s_add_u32 s50, 0x180, s42                                  // 000000003660: 80322AFF 00000180
	s_cmp_lt_u32 s50, s43                                      // 000000003668: BF0A2B32
	s_cselect_b32 s57, s57, 0                                  // 00000000366C: 85398039
	v_mfma_f32_16x16x32_fp8_fp8 v[60:63], a[12:13], a[92:93], v[60:63]// 000000003670: D3F3003C 1CF2B90C
	v_mfma_f32_16x16x32_fp8_fp8 v[60:63], a[14:15], a[94:95], v[60:63]// 000000003678: D3F3003C 1CF2BD0E
	buffer_load_dword v108, v115, s[24:27], 0 offen            // 000000003680: E0501000 80066C73
	s_add_u32 s4, s54, s4                                      // 000000003688: 80040436
	s_addc_u32 s5, 0, s5                                       // 00000000368C: 82050580
	s_sub_u32 s6, s6, s54                                      // 000000003690: 80863606
	s_add_u32 s8, s55, s8                                      // 000000003694: 80080837
	s_addc_u32 s9, 0, s9                                       // 000000003698: 82090980
	s_sub_u32 s10, s10, s55                                    // 00000000369C: 808A370A
	s_add_u32 s20, s56, s20                                    // 0000000036A0: 80141438
	s_addc_u32 s21, 0, s21                                     // 0000000036A4: 82151580
	s_add_u32 s24, s57, s24                                    // 0000000036A8: 80181839
	s_addc_u32 s25, 0, s25                                     // 0000000036AC: 82191980
	s_sub_u32 s26, s26, s57                                    // 0000000036B0: 809A391A
	v_pk_fma_f32 v[80:81], v[4:5], v[56:57], v[80:81]          // 0000000036B4: D3B04050 1D427104
	v_pk_fma_f32 v[82:83], v[4:5], v[58:59], v[82:83]          // 0000000036BC: D3B04052 1D4A7504
	v_pk_fma_f32 v[84:85], v[4:5], v[60:61], v[84:85]          // 0000000036C4: D3B04054 1D527904
	v_pk_fma_f32 v[86:87], v[4:5], v[62:63], v[86:87]          // 0000000036CC: D3B04056 1D5A7D04
	s_addk_i32 s42, 0x80                                       // 0000000036D4: B72A0080
	s_cmp_lt_i32 s42, s43                                      // 0000000036D8: BF042B2A
	s_cbranch_scc0 label_063B                                  // 0000000036DC: BF840143
	s_waitcnt vmcnt(13) lgkmcnt(0)                             // 0000000036E0: BF8C007D
	s_barrier                                                  // 0000000036E4: BF8A0000
	v_mfma_f32_16x16x32_fp8_fp8 v[40:43], a[16:17], a[48:49], 0// 0000000036E8: D3F30028 1A026110
	s_add_u32 m0, 0, s59                                       // 0000000036F0: 807C3B80
	buffer_load_dword v32, s[4:7], 0 offen lds                 // 0000000036F4: E0511000 80010020
	v_mfma_f32_16x16x32_fp8_fp8 v[40:43], a[18:19], a[50:51], v[40:43]// 0000000036FC: D3F30028 1CA26512
	ds_read_b128 a[72:75], v38 offset:12544                    // 000000003704: DBFE3100 48000026
	v_mfma_f32_16x16x32_fp8_fp8 v[40:43], a[20:21], a[52:53], v[40:43]// 00000000370C: D3F30028 1CA26914
	s_add_u32 m0, 0x100, s59                                   // 000000003714: 807C3BFF 00000100
	buffer_load_dword v33, s[4:7], 0 offen lds                 // 00000000371C: E0511000 80010021
	v_mfma_f32_16x16x32_fp8_fp8 v[40:43], a[22:23], a[54:55], v[40:43]// 000000003724: D3F30028 1CA26D16
	ds_read_b128 a[76:79], v38 offset:12608                    // 00000000372C: DBFE3140 4C000026
	v_mul_f32_e32 v4, v107, v91                                // 000000003734: 0A08B76B
	v_mov_b32_e32 v5, v4                                       // 000000003738: 7E0A0304
	v_mfma_f32_16x16x32_fp8_fp8 v[44:47], a[24:25], a[48:49], 0// 00000000373C: D3F3002C 1A026118
	buffer_load_dwordx4 a[0:3], v28, s[8:11], 0 offen          // 000000003744: E05C1000 8082001C
	v_mfma_f32_16x16x32_fp8_fp8 v[44:47], a[26:27], a[50:51], v[44:47]// 00000000374C: D3F3002C 1CB2651A
	buffer_load_dword v91, v109, s[20:23], 0 offen             // 000000003754: E0501000 80055B6D
	v_mfma_f32_16x16x32_fp8_fp8 v[44:47], a[28:29], a[52:53], v[44:47]// 00000000375C: D3F3002C 1CB2691C
	buffer_load_dwordx4 a[4:7], v29, s[8:11], 0 offen          // 000000003764: E05C1000 8082041D
	v_mfma_f32_16x16x32_fp8_fp8 v[44:47], a[30:31], a[54:55], v[44:47]// 00000000376C: D3F3002C 1CB26D1E
	v_pk_fma_f32 v[64:65], v[4:5], v[40:41], v[64:65]          // 000000003774: D3B04040 1D025104
	v_pk_fma_f32 v[66:67], v[4:5], v[42:43], v[66:67]          // 00000000377C: D3B04042 1D0A5504
	v_pk_fma_f32 v[68:69], v[4:5], v[44:45], v[68:69]          // 000000003784: D3B04044 1D125904
	v_pk_fma_f32 v[70:71], v[4:5], v[46:47], v[70:71]          // 00000000378C: D3B04046 1D1A5D04
	v_mfma_f32_16x16x32_fp8_fp8 v[48:51], a[16:17], a[56:57], 0// 000000003794: D3F30030 1A027110
	s_add_u32 m0, 0x200, s59                                   // 00000000379C: 807C3BFF 00000200
	buffer_load_dword v34, s[4:7], 0 offen lds                 // 0000000037A4: E0511000 80010022
	v_mfma_f32_16x16x32_fp8_fp8 v[48:51], a[18:19], a[58:59], v[48:51]// 0000000037AC: D3F30030 1CC27512
	ds_read_b128 a[80:83], v38 offset:13056                    // 0000000037B4: DBFE3300 50000026
	v_mfma_f32_16x16x32_fp8_fp8 v[48:51], a[20:21], a[60:61], v[48:51]// 0000000037BC: D3F30030 1CC27914
	s_add_u32 m0, 0x300, s59                                   // 0000000037C4: 807C3BFF 00000300
	buffer_load_dword v35, s[4:7], 0 offen lds                 // 0000000037CC: E0511000 80010023
	v_mfma_f32_16x16x32_fp8_fp8 v[48:51], a[22:23], a[62:63], v[48:51]// 0000000037D4: D3F30030 1CC27D16
	ds_read_b128 a[84:87], v38 offset:13120                    // 0000000037DC: DBFE3340 54000026
	v_mul_f32_e32 v4, v107, v92                                // 0000000037E4: 0A08B96B
	v_mov_b32_e32 v5, v4                                       // 0000000037E8: 7E0A0304
	v_mfma_f32_16x16x32_fp8_fp8 v[52:55], a[24:25], a[56:57], 0// 0000000037EC: D3F30034 1A027118
	buffer_load_dwordx4 a[8:11], v30, s[8:11], 0 offen         // 0000000037F4: E05C1000 8082081E
	v_mfma_f32_16x16x32_fp8_fp8 v[52:55], a[26:27], a[58:59], v[52:55]// 0000000037FC: D3F30034 1CD2751A
	buffer_load_dword v92, v110, s[20:23], 0 offen             // 000000003804: E0501000 80055C6E
	v_mfma_f32_16x16x32_fp8_fp8 v[52:55], a[28:29], a[60:61], v[52:55]// 00000000380C: D3F30034 1CD2791C
	buffer_load_dwordx4 a[12:15], v31, s[8:11], 0 offen        // 000000003814: E05C1000 80820C1F
	v_mfma_f32_16x16x32_fp8_fp8 v[52:55], a[30:31], a[62:63], v[52:55]// 00000000381C: D3F30034 1CD27D1E
	v_pk_fma_f32 v[72:73], v[4:5], v[48:49], v[72:73]          // 000000003824: D3B04048 1D226104
	v_pk_fma_f32 v[74:75], v[4:5], v[50:51], v[74:75]          // 00000000382C: D3B0404A 1D2A6504
	v_pk_fma_f32 v[76:77], v[4:5], v[52:53], v[76:77]          // 000000003834: D3B0404C 1D326904
	v_pk_fma_f32 v[78:79], v[4:5], v[54:55], v[78:79]          // 00000000383C: D3B0404E 1D3A6D04
	v_mfma_f32_16x16x32_fp8_fp8 v[56:59], a[16:17], a[64:65], 0// 000000003844: D3F30038 1A028110
	s_add_u32 m0, 0x400, s59                                   // 00000000384C: 807C3BFF 00000400
	buffer_load_dword v36, s[4:7], 0 offen lds                 // 000000003854: E0511000 80010024
	v_mfma_f32_16x16x32_fp8_fp8 v[56:59], a[18:19], a[66:67], v[56:59]// 00000000385C: D3F30038 1CE28512
	ds_read_b128 a[88:91], v38 offset:13568                    // 000000003864: DBFE3500 58000026
	v_mfma_f32_16x16x32_fp8_fp8 v[56:59], a[20:21], a[68:69], v[56:59]// 00000000386C: D3F30038 1CE28914
	s_add_u32 m0, 0x500, s59                                   // 000000003874: 807C3BFF 00000500
	buffer_load_dword v37, s[4:7], 0 offen lds                 // 00000000387C: E0511000 80010025
	v_mfma_f32_16x16x32_fp8_fp8 v[56:59], a[22:23], a[70:71], v[56:59]// 000000003884: D3F30038 1CE28D16
	ds_read_b128 a[92:95], v38 offset:13632                    // 00000000388C: DBFE3540 5C000026
	v_mul_f32_e32 v4, v107, v93                                // 000000003894: 0A08BB6B
	v_mov_b32_e32 v5, v4                                       // 000000003898: 7E0A0304
	v_mfma_f32_16x16x32_fp8_fp8 v[60:63], a[24:25], a[64:65], 0// 00000000389C: D3F3003C 1A028118
	v_mfma_f32_16x16x32_fp8_fp8 v[60:63], a[26:27], a[66:67], v[60:63]// 0000000038A4: D3F3003C 1CF2851A
	buffer_load_dword v93, v111, s[20:23], 0 offen             // 0000000038AC: E0501000 80055D6F
	s_add_u32 s50, 0x200, s42                                  // 0000000038B4: 80322AFF 00000200
	s_cmp_lt_u32 s50, s43                                      // 0000000038BC: BF0A2B32
	s_cselect_b32 s54, s54, 0                                  // 0000000038C0: 85368036
	s_add_u32 s50, 0x180, s42                                  // 0000000038C4: 80322AFF 00000180
	s_cmp_lt_u32 s50, s43                                      // 0000000038CC: BF0A2B32
	s_cselect_b32 s55, s55, 0                                  // 0000000038D0: 85378037
	s_add_u32 s50, 0x200, s42                                  // 0000000038D4: 80322AFF 00000200
	s_cmp_lt_u32 s50, s43                                      // 0000000038DC: BF0A2B32
	s_cselect_b32 s56, s56, 0                                  // 0000000038E0: 85388038
	s_add_u32 s50, 0x180, s42                                  // 0000000038E4: 80322AFF 00000180
	s_cmp_lt_u32 s50, s43                                      // 0000000038EC: BF0A2B32
	s_cselect_b32 s57, s57, 0                                  // 0000000038F0: 85398039
	v_mfma_f32_16x16x32_fp8_fp8 v[60:63], a[28:29], a[68:69], v[60:63]// 0000000038F4: D3F3003C 1CF2891C
	v_mfma_f32_16x16x32_fp8_fp8 v[60:63], a[30:31], a[70:71], v[60:63]// 0000000038FC: D3F3003C 1CF28D1E
	buffer_load_dword v106, v115, s[24:27], 0 offen            // 000000003904: E0501000 80066A73
	s_add_u32 s4, s54, s4                                      // 00000000390C: 80040436
	s_addc_u32 s5, 0, s5                                       // 000000003910: 82050580
	s_sub_u32 s6, s6, s54                                      // 000000003914: 80863606
	s_add_u32 s8, s55, s8                                      // 000000003918: 80080837
	s_addc_u32 s9, 0, s9                                       // 00000000391C: 82090980
	s_sub_u32 s10, s10, s55                                    // 000000003920: 808A370A
	s_add_u32 s20, s56, s20                                    // 000000003924: 80141438
	s_addc_u32 s21, 0, s21                                     // 000000003928: 82151580
	s_add_u32 s24, s57, s24                                    // 00000000392C: 80181839
	s_addc_u32 s25, 0, s25                                     // 000000003930: 82191980
	s_sub_u32 s26, s26, s57                                    // 000000003934: 809A391A
	v_pk_fma_f32 v[80:81], v[4:5], v[56:57], v[80:81]          // 000000003938: D3B04050 1D427104
	v_pk_fma_f32 v[82:83], v[4:5], v[58:59], v[82:83]          // 000000003940: D3B04052 1D4A7504
	v_pk_fma_f32 v[84:85], v[4:5], v[60:61], v[84:85]          // 000000003948: D3B04054 1D527904
	v_pk_fma_f32 v[86:87], v[4:5], v[62:63], v[86:87]          // 000000003950: D3B04056 1D5A7D04
	s_addk_i32 s42, 0x80                                       // 000000003958: B72A0080
	s_cmp_lt_i32 s42, s43                                      // 00000000395C: BF042B2A
	s_cbranch_scc0 label_063B                                  // 000000003960: BF8400A2
	s_waitcnt vmcnt(13) lgkmcnt(0)                             // 000000003964: BF8C007D
	s_barrier                                                  // 000000003968: BF8A0000
	v_mfma_f32_16x16x32_fp8_fp8 v[40:43], a[32:33], a[72:73], 0// 00000000396C: D3F30028 1A029120
	s_add_u32 m0, 0, s60                                       // 000000003974: 807C3C80
	buffer_load_dword v32, s[4:7], 0 offen lds                 // 000000003978: E0511000 80010020
	v_mfma_f32_16x16x32_fp8_fp8 v[40:43], a[34:35], a[74:75], v[40:43]// 000000003980: D3F30028 1CA29522
	ds_read_b128 a[48:51], v38                                 // 000000003988: DBFE0000 30000026
	v_mfma_f32_16x16x32_fp8_fp8 v[40:43], a[36:37], a[76:77], v[40:43]// 000000003990: D3F30028 1CA29924
	s_add_u32 m0, 0x100, s60                                   // 000000003998: 807C3CFF 00000100
	buffer_load_dword v33, s[4:7], 0 offen lds                 // 0000000039A0: E0511000 80010021
	v_mfma_f32_16x16x32_fp8_fp8 v[40:43], a[38:39], a[78:79], v[40:43]// 0000000039A8: D3F30028 1CA29D26
	ds_read_b128 a[52:55], v38 offset:64                       // 0000000039B0: DBFE0040 34000026
	v_mul_f32_e32 v4, v108, v94                                // 0000000039B8: 0A08BD6C
	v_mov_b32_e32 v5, v4                                       // 0000000039BC: 7E0A0304
	v_mfma_f32_16x16x32_fp8_fp8 v[44:47], a[40:41], a[72:73], 0// 0000000039C0: D3F3002C 1A029128
	buffer_load_dwordx4 a[16:19], v28, s[8:11], 0 offen        // 0000000039C8: E05C1000 8082101C
	v_mfma_f32_16x16x32_fp8_fp8 v[44:47], a[42:43], a[74:75], v[44:47]// 0000000039D0: D3F3002C 1CB2952A
	buffer_load_dword v94, v109, s[20:23], 0 offen             // 0000000039D8: E0501000 80055E6D
	v_mfma_f32_16x16x32_fp8_fp8 v[44:47], a[44:45], a[76:77], v[44:47]// 0000000039E0: D3F3002C 1CB2992C
	buffer_load_dwordx4 a[20:23], v29, s[8:11], 0 offen        // 0000000039E8: E05C1000 8082141D
	v_mfma_f32_16x16x32_fp8_fp8 v[44:47], a[46:47], a[78:79], v[44:47]// 0000000039F0: D3F3002C 1CB29D2E
	v_pk_fma_f32 v[64:65], v[4:5], v[40:41], v[64:65]          // 0000000039F8: D3B04040 1D025104
	v_pk_fma_f32 v[66:67], v[4:5], v[42:43], v[66:67]          // 000000003A00: D3B04042 1D0A5504
	v_pk_fma_f32 v[68:69], v[4:5], v[44:45], v[68:69]          // 000000003A08: D3B04044 1D125904
	v_pk_fma_f32 v[70:71], v[4:5], v[46:47], v[70:71]          // 000000003A10: D3B04046 1D1A5D04
	v_mfma_f32_16x16x32_fp8_fp8 v[48:51], a[32:33], a[80:81], 0// 000000003A18: D3F30030 1A02A120
	s_add_u32 m0, 0x200, s60                                   // 000000003A20: 807C3CFF 00000200
	buffer_load_dword v34, s[4:7], 0 offen lds                 // 000000003A28: E0511000 80010022
	v_mfma_f32_16x16x32_fp8_fp8 v[48:51], a[34:35], a[82:83], v[48:51]// 000000003A30: D3F30030 1CC2A522
	ds_read_b128 a[56:59], v38 offset:512                      // 000000003A38: DBFE0200 38000026
	v_mfma_f32_16x16x32_fp8_fp8 v[48:51], a[36:37], a[84:85], v[48:51]// 000000003A40: D3F30030 1CC2A924
	s_add_u32 m0, 0x300, s60                                   // 000000003A48: 807C3CFF 00000300
	buffer_load_dword v35, s[4:7], 0 offen lds                 // 000000003A50: E0511000 80010023
	v_mfma_f32_16x16x32_fp8_fp8 v[48:51], a[38:39], a[86:87], v[48:51]// 000000003A58: D3F30030 1CC2AD26
	ds_read_b128 a[60:63], v38 offset:576                      // 000000003A60: DBFE0240 3C000026
	v_mul_f32_e32 v4, v108, v95                                // 000000003A68: 0A08BF6C
	v_mov_b32_e32 v5, v4                                       // 000000003A6C: 7E0A0304
	v_mfma_f32_16x16x32_fp8_fp8 v[52:55], a[40:41], a[80:81], 0// 000000003A70: D3F30034 1A02A128
	buffer_load_dwordx4 a[24:27], v30, s[8:11], 0 offen        // 000000003A78: E05C1000 8082181E
	v_mfma_f32_16x16x32_fp8_fp8 v[52:55], a[42:43], a[82:83], v[52:55]// 000000003A80: D3F30034 1CD2A52A
	buffer_load_dword v95, v110, s[20:23], 0 offen             // 000000003A88: E0501000 80055F6E
	v_mfma_f32_16x16x32_fp8_fp8 v[52:55], a[44:45], a[84:85], v[52:55]// 000000003A90: D3F30034 1CD2A92C
	buffer_load_dwordx4 a[28:31], v31, s[8:11], 0 offen        // 000000003A98: E05C1000 80821C1F
	v_mfma_f32_16x16x32_fp8_fp8 v[52:55], a[46:47], a[86:87], v[52:55]// 000000003AA0: D3F30034 1CD2AD2E
	v_pk_fma_f32 v[72:73], v[4:5], v[48:49], v[72:73]          // 000000003AA8: D3B04048 1D226104
	v_pk_fma_f32 v[74:75], v[4:5], v[50:51], v[74:75]          // 000000003AB0: D3B0404A 1D2A6504
	v_pk_fma_f32 v[76:77], v[4:5], v[52:53], v[76:77]          // 000000003AB8: D3B0404C 1D326904
	v_pk_fma_f32 v[78:79], v[4:5], v[54:55], v[78:79]          // 000000003AC0: D3B0404E 1D3A6D04
	v_mfma_f32_16x16x32_fp8_fp8 v[56:59], a[32:33], a[88:89], 0// 000000003AC8: D3F30038 1A02B120
	s_add_u32 m0, 0x400, s60                                   // 000000003AD0: 807C3CFF 00000400
	buffer_load_dword v36, s[4:7], 0 offen lds                 // 000000003AD8: E0511000 80010024
	v_mfma_f32_16x16x32_fp8_fp8 v[56:59], a[34:35], a[90:91], v[56:59]// 000000003AE0: D3F30038 1CE2B522
	ds_read_b128 a[64:67], v38 offset:1024                     // 000000003AE8: DBFE0400 40000026
	v_mfma_f32_16x16x32_fp8_fp8 v[56:59], a[36:37], a[92:93], v[56:59]// 000000003AF0: D3F30038 1CE2B924
	s_add_u32 m0, 0x500, s60                                   // 000000003AF8: 807C3CFF 00000500
	buffer_load_dword v37, s[4:7], 0 offen lds                 // 000000003B00: E0511000 80010025
	v_mfma_f32_16x16x32_fp8_fp8 v[56:59], a[38:39], a[94:95], v[56:59]// 000000003B08: D3F30038 1CE2BD26
	ds_read_b128 a[68:71], v38 offset:1088                     // 000000003B10: DBFE0440 44000026
	v_mul_f32_e32 v4, v108, v96                                // 000000003B18: 0A08C16C
	v_mov_b32_e32 v5, v4                                       // 000000003B1C: 7E0A0304
	v_mfma_f32_16x16x32_fp8_fp8 v[60:63], a[40:41], a[88:89], 0// 000000003B20: D3F3003C 1A02B128
	v_mfma_f32_16x16x32_fp8_fp8 v[60:63], a[42:43], a[90:91], v[60:63]// 000000003B28: D3F3003C 1CF2B52A
	buffer_load_dword v96, v111, s[20:23], 0 offen             // 000000003B30: E0501000 8005606F
	s_add_u32 s50, 0x200, s42                                  // 000000003B38: 80322AFF 00000200
	s_cmp_lt_u32 s50, s43                                      // 000000003B40: BF0A2B32
	s_cselect_b32 s54, s54, 0                                  // 000000003B44: 85368036
	s_add_u32 s50, 0x180, s42                                  // 000000003B48: 80322AFF 00000180
	s_cmp_lt_u32 s50, s43                                      // 000000003B50: BF0A2B32
	s_cselect_b32 s55, s55, 0                                  // 000000003B54: 85378037
	s_add_u32 s50, 0x200, s42                                  // 000000003B58: 80322AFF 00000200
	s_cmp_lt_u32 s50, s43                                      // 000000003B60: BF0A2B32
	s_cselect_b32 s56, s56, 0                                  // 000000003B64: 85388038
	s_add_u32 s50, 0x180, s42                                  // 000000003B68: 80322AFF 00000180
	s_cmp_lt_u32 s50, s43                                      // 000000003B70: BF0A2B32
	s_cselect_b32 s57, s57, 0                                  // 000000003B74: 85398039
	v_mfma_f32_16x16x32_fp8_fp8 v[60:63], a[44:45], a[92:93], v[60:63]// 000000003B78: D3F3003C 1CF2B92C
	v_mfma_f32_16x16x32_fp8_fp8 v[60:63], a[46:47], a[94:95], v[60:63]// 000000003B80: D3F3003C 1CF2BD2E
	buffer_load_dword v107, v115, s[24:27], 0 offen            // 000000003B88: E0501000 80066B73
	s_add_u32 s4, s54, s4                                      // 000000003B90: 80040436
	s_addc_u32 s5, 0, s5                                       // 000000003B94: 82050580
	s_sub_u32 s6, s6, s54                                      // 000000003B98: 80863606
	s_add_u32 s8, s55, s8                                      // 000000003B9C: 80080837
	s_addc_u32 s9, 0, s9                                       // 000000003BA0: 82090980
	s_sub_u32 s10, s10, s55                                    // 000000003BA4: 808A370A
	s_add_u32 s20, s56, s20                                    // 000000003BA8: 80141438
	s_addc_u32 s21, 0, s21                                     // 000000003BAC: 82151580
	s_add_u32 s24, s57, s24                                    // 000000003BB0: 80181839
	s_addc_u32 s25, 0, s25                                     // 000000003BB4: 82191980
	s_sub_u32 s26, s26, s57                                    // 000000003BB8: 809A391A
	v_pk_fma_f32 v[80:81], v[4:5], v[56:57], v[80:81]          // 000000003BBC: D3B04050 1D427104
	v_pk_fma_f32 v[82:83], v[4:5], v[58:59], v[82:83]          // 000000003BC4: D3B04052 1D4A7504
	v_pk_fma_f32 v[84:85], v[4:5], v[60:61], v[84:85]          // 000000003BCC: D3B04054 1D527904
	v_pk_fma_f32 v[86:87], v[4:5], v[62:63], v[86:87]          // 000000003BD4: D3B04056 1D5A7D04
	s_addk_i32 s42, 0x80                                       // 000000003BDC: B72A0080
	s_cmp_lt_i32 s42, s43                                      // 000000003BE0: BF042B2A
	s_cbranch_scc0 label_063B                                  // 000000003BE4: BF840001
	s_branch label_0274                                        // 000000003BE8: BF82FC39

0000000000003bec <label_063B>:
	s_cmp_eq_u32 s38, 1                                        // 000000003BEC: BF068126
	s_cbranch_scc1 label_0708                                  // 000000003BF0: BF8500CB
	v_add_f32_e32 v64, v64, v12                                // 000000003BF4: 02801940
	v_add_f32_e32 v65, v65, v13                                // 000000003BF8: 02821B41
	v_perm_b32 v40, v65, v64, s48                              // 000000003BFC: D1ED0028 00C28141
	v_add_f32_e32 v66, v66, v14                                // 000000003C04: 02841D42
	v_add_f32_e32 v67, v67, v15                                // 000000003C08: 02861F43
	v_perm_b32 v41, v67, v66, s48                              // 000000003C0C: D1ED0029 00C28543
	v_add_f32_e32 v68, v68, v16                                // 000000003C14: 02882144
	v_add_f32_e32 v69, v69, v17                                // 000000003C18: 028A2345
	v_perm_b32 v42, v69, v68, s48                              // 000000003C1C: D1ED002A 00C28945
	v_add_f32_e32 v70, v70, v18                                // 000000003C24: 028C2546
	v_add_f32_e32 v71, v71, v19                                // 000000003C28: 028E2747
	v_perm_b32 v43, v71, v70, s48                              // 000000003C2C: D1ED002B 00C28D47
	v_add_f32_e32 v72, v72, v12                                // 000000003C34: 02901948
	v_add_f32_e32 v73, v73, v13                                // 000000003C38: 02921B49
	v_perm_b32 v44, v73, v72, s48                              // 000000003C3C: D1ED002C 00C29149
	v_add_f32_e32 v74, v74, v14                                // 000000003C44: 02941D4A
	v_add_f32_e32 v75, v75, v15                                // 000000003C48: 02961F4B
	v_perm_b32 v45, v75, v74, s48                              // 000000003C4C: D1ED002D 00C2954B
	v_add_f32_e32 v76, v76, v16                                // 000000003C54: 0298214C
	v_add_f32_e32 v77, v77, v17                                // 000000003C58: 029A234D
	v_perm_b32 v46, v77, v76, s48                              // 000000003C5C: D1ED002E 00C2994D
	v_add_f32_e32 v78, v78, v18                                // 000000003C64: 029C254E
	v_add_f32_e32 v79, v79, v19                                // 000000003C68: 029E274F
	v_perm_b32 v47, v79, v78, s48                              // 000000003C6C: D1ED002F 00C29D4F
	v_add_f32_e32 v80, v80, v12                                // 000000003C74: 02A01950
	v_add_f32_e32 v81, v81, v13                                // 000000003C78: 02A21B51
	v_perm_b32 v48, v81, v80, s48                              // 000000003C7C: D1ED0030 00C2A151
	v_add_f32_e32 v82, v82, v14                                // 000000003C84: 02A41D52
	v_add_f32_e32 v83, v83, v15                                // 000000003C88: 02A61F53
	v_perm_b32 v49, v83, v82, s48                              // 000000003C8C: D1ED0031 00C2A553
	v_add_f32_e32 v84, v84, v16                                // 000000003C94: 02A82154
	v_add_f32_e32 v85, v85, v17                                // 000000003C98: 02AA2355
	v_perm_b32 v50, v85, v84, s48                              // 000000003C9C: D1ED0032 00C2A955
	v_add_f32_e32 v86, v86, v18                                // 000000003CA4: 02AC2556
	v_add_f32_e32 v87, v87, v19                                // 000000003CA8: 02AE2757
	v_perm_b32 v51, v87, v86, s48                              // 000000003CAC: D1ED0033 00C2AD57
	v_lshrrev_b32_e32 v4, 4, v0                                // 000000003CB4: 20080084
	v_mul_u32_u24_e32 v38, 34, v4                              // 000000003CB8: 104C08A2
	v_and_b32_e32 v4, 15, v0                                   // 000000003CBC: 2608008F
	v_mul_lo_u32 v5, 2, v4                                     // 000000003CC0: D2850005 00020882
	v_add_u32_e32 v38, v5, v38                                 // 000000003CC8: 684C4D05
	s_mul_i32 s50, s47, 0x110                                  // 000000003CCC: 9232FF2F 00000110
	v_add_u32_e32 v38, s50, v38                                // 000000003CD4: 684C4C32
	v_lshlrev_b32_e32 v38, 2, v38                              // 000000003CD8: 244C4C82
	v_lshrrev_b32_e32 v4, 1, v0                                // 000000003CDC: 20080081
	v_mul_u32_u24_e32 v32, 34, v4                              // 000000003CE0: 104008A2
	v_and_b32_e32 v5, 1, v0                                    // 000000003CE4: 260A0081
	v_add_u32_e32 v32, v5, v32                                 // 000000003CE8: 68404105
	s_mul_i32 s50, s47, 2                                      // 000000003CEC: 9232822F
	v_add_u32_e32 v32, s50, v32                                // 000000003CF0: 68404032
	v_lshlrev_b32_e32 v32, 2, v32                              // 000000003CF4: 24404082
	s_waitcnt vmcnt(0) expcnt(0) lgkmcnt(0)                    // 000000003CF8: BF8C0000
	s_barrier                                                  // 000000003CFC: BF8A0000
	ds_write_b64 v38, v[40:41]                                 // 000000003D00: D89A0000 00002826
	ds_write_b64 v38, v[42:43] offset:544                      // 000000003D08: D89A0220 00002A26
	ds_write_b64 v38, v[44:45] offset:4352                     // 000000003D10: D89A1100 00002C26
	ds_write_b64 v38, v[46:47] offset:4896                     // 000000003D18: D89A1320 00002E26
	ds_write_b64 v38, v[48:49] offset:8704                     // 000000003D20: D89A2200 00003026
	ds_write_b64 v38, v[50:51] offset:9248                     // 000000003D28: D89A2420 00003226
	s_waitcnt lgkmcnt(0)                                       // 000000003D30: BF8CC07F
	s_barrier                                                  // 000000003D34: BF8A0000
	ds_read_b32 v40, v32                                       // 000000003D38: D86C0000 28000020
	ds_read_b32 v41, v32 offset:32                             // 000000003D40: D86C0020 29000020
	ds_read_b32 v42, v32 offset:64                             // 000000003D48: D86C0040 2A000020
	ds_read_b32 v43, v32 offset:96                             // 000000003D50: D86C0060 2B000020
	ds_read_b32 v44, v32 offset:4352                           // 000000003D58: D86C1100 2C000020
	ds_read_b32 v45, v32 offset:4384                           // 000000003D60: D86C1120 2D000020
	ds_read_b32 v46, v32 offset:4416                           // 000000003D68: D86C1140 2E000020
	ds_read_b32 v47, v32 offset:4448                           // 000000003D70: D86C1160 2F000020
	ds_read_b32 v48, v32 offset:8704                           // 000000003D78: D86C2200 30000020
	ds_read_b32 v49, v32 offset:8736                           // 000000003D80: D86C2220 31000020
	ds_read_b32 v50, v32 offset:8768                           // 000000003D88: D86C2240 32000020
	ds_read_b32 v51, v32 offset:8800                           // 000000003D90: D86C2260 33000020
	s_waitcnt lgkmcnt(0)                                       // 000000003D98: BF8CC07F
	s_barrier                                                  // 000000003D9C: BF8A0000
	s_mul_i32 s50, s37, 4                                      // 000000003DA0: 92328425
	s_mul_i32 s51, s37, 8                                      // 000000003DA4: 92338825
	s_mul_i32 s52, s37, 16                                     // 000000003DA8: 92349025
	v_mov_b32_e32 v4, v23                                      // 000000003DAC: 7E080317
	v_mov_b32_e32 v5, 0                                        // 000000003DB0: 7E0A0280
	v_mov_b32_e32 v7, 0                                        // 000000003DB4: 7E0E0280
	v_mov_b32_e32 v9, 0                                        // 000000003DB8: 7E120280
	v_mov_b32_e32 v11, 0                                       // 000000003DBC: 7E160280
	v_mov_b32_e32 v6, v4                                       // 000000003DC0: 7E0C0304
	v_add_u32_e64 v10, v4, s51                                 // 000000003DC4: D134000A 00006704
	s_cmp_ge_u32 s77, s32                                      // 000000003DCC: BF09204D
	s_cbranch_scc1 label_0744                                  // 000000003DD0: BF85008F
	global_atomic_pk_add_bf16 v6, v40, s[80:81]                // 000000003DD4: DD488000 00502806
	v_add_u32_e64 v8, v6, s50                                  // 000000003DDC: D1340008 00006506
	s_add_i32 s77, s77, 4                                      // 000000003DE4: 814D844D
	s_cmp_ge_u32 s77, s32                                      // 000000003DE8: BF09204D
	s_cbranch_scc1 label_0744                                  // 000000003DEC: BF850088
	global_atomic_pk_add_bf16 v8, v41, s[80:81]                // 000000003DF0: DD488000 00502908
	s_add_i32 s77, s77, 4                                      // 000000003DF8: 814D844D
	s_cmp_ge_u32 s77, s32                                      // 000000003DFC: BF09204D
	s_cbranch_scc1 label_0744                                  // 000000003E00: BF850083
	global_atomic_pk_add_bf16 v10, v42, s[80:81]               // 000000003E04: DD488000 00502A0A
	v_add_u32_e64 v12, v10, s50                                // 000000003E0C: D134000C 0000650A
	s_add_i32 s77, s77, 4                                      // 000000003E14: 814D844D
	s_cmp_ge_u32 s77, s32                                      // 000000003E18: BF09204D
	s_cbranch_scc1 label_0744                                  // 000000003E1C: BF85007C
	global_atomic_pk_add_bf16 v12, v43, s[80:81]               // 000000003E20: DD488000 00502B0C
	s_add_i32 s77, s77, 4                                      // 000000003E28: 814D844D
	v_add_u32_e64 v4, v4, s52                                  // 000000003E2C: D1340004 00006904
	v_mov_b32_e32 v6, v4                                       // 000000003E34: 7E0C0304
	v_add_u32_e64 v10, v4, s51                                 // 000000003E38: D134000A 00006704
	s_cmp_ge_u32 s77, s32                                      // 000000003E40: BF09204D
	s_cbranch_scc1 label_0744                                  // 000000003E44: BF850072
	global_atomic_pk_add_bf16 v6, v44, s[80:81]                // 000000003E48: DD488000 00502C06
	v_add_u32_e64 v8, v6, s50                                  // 000000003E50: D1340008 00006506
	s_add_i32 s77, s77, 4                                      // 000000003E58: 814D844D
	s_cmp_ge_u32 s77, s32                                      // 000000003E5C: BF09204D
	s_cbranch_scc1 label_0744                                  // 000000003E60: BF85006B
	global_atomic_pk_add_bf16 v8, v45, s[80:81]                // 000000003E64: DD488000 00502D08
	s_add_i32 s77, s77, 4                                      // 000000003E6C: 814D844D
	s_cmp_ge_u32 s77, s32                                      // 000000003E70: BF09204D
	s_cbranch_scc1 label_0744                                  // 000000003E74: BF850066
	global_atomic_pk_add_bf16 v10, v46, s[80:81]               // 000000003E78: DD488000 00502E0A
	v_add_u32_e64 v12, v10, s50                                // 000000003E80: D134000C 0000650A
	s_add_i32 s77, s77, 4                                      // 000000003E88: 814D844D
	s_cmp_ge_u32 s77, s32                                      // 000000003E8C: BF09204D
	s_cbranch_scc1 label_0744                                  // 000000003E90: BF85005F
	global_atomic_pk_add_bf16 v12, v47, s[80:81]               // 000000003E94: DD488000 00502F0C
	s_add_i32 s77, s77, 4                                      // 000000003E9C: 814D844D
	v_add_u32_e64 v4, v4, s52                                  // 000000003EA0: D1340004 00006904
	v_mov_b32_e32 v6, v4                                       // 000000003EA8: 7E0C0304
	v_add_u32_e64 v10, v4, s51                                 // 000000003EAC: D134000A 00006704
	s_cmp_ge_u32 s77, s32                                      // 000000003EB4: BF09204D
	s_cbranch_scc1 label_0744                                  // 000000003EB8: BF850055
	global_atomic_pk_add_bf16 v6, v48, s[80:81]                // 000000003EBC: DD488000 00503006
	v_add_u32_e64 v8, v6, s50                                  // 000000003EC4: D1340008 00006506
	s_add_i32 s77, s77, 4                                      // 000000003ECC: 814D844D
	s_cmp_ge_u32 s77, s32                                      // 000000003ED0: BF09204D
	s_cbranch_scc1 label_0744                                  // 000000003ED4: BF85004E
	global_atomic_pk_add_bf16 v8, v49, s[80:81]                // 000000003ED8: DD488000 00503108
	s_add_i32 s77, s77, 4                                      // 000000003EE0: 814D844D
	s_cmp_ge_u32 s77, s32                                      // 000000003EE4: BF09204D
	s_cbranch_scc1 label_0744                                  // 000000003EE8: BF850049
	global_atomic_pk_add_bf16 v10, v50, s[80:81]               // 000000003EEC: DD488000 0050320A
	v_add_u32_e64 v12, v10, s50                                // 000000003EF4: D134000C 0000650A
	s_add_i32 s77, s77, 4                                      // 000000003EFC: 814D844D
	s_cmp_ge_u32 s77, s32                                      // 000000003F00: BF09204D
	s_cbranch_scc1 label_0744                                  // 000000003F04: BF850042
	global_atomic_pk_add_bf16 v12, v51, s[80:81]               // 000000003F08: DD488000 0050330C
	s_add_i32 s77, s77, 4                                      // 000000003F10: 814D844D
	v_add_u32_e64 v4, v4, s52                                  // 000000003F14: D1340004 00006904
	s_branch label_0744                                        // 000000003F1C: BF82003C

0000000000003f20 <label_0708>:
	v_add_f32_e32 v64, v64, v12                                // 000000003F20: 02801940
	v_add_f32_e32 v65, v65, v13                                // 000000003F24: 02821B41
	v_perm_b32 v40, v65, v64, s48                              // 000000003F28: D1ED0028 00C28141
	v_add_f32_e32 v66, v66, v14                                // 000000003F30: 02841D42
	v_add_f32_e32 v67, v67, v15                                // 000000003F34: 02861F43
	v_perm_b32 v41, v67, v66, s48                              // 000000003F38: D1ED0029 00C28543
	buffer_store_dwordx2 v[40:41], v20, s[16:19], 0 offen      // 000000003F40: E0741000 80042814
	v_add_f32_e32 v68, v68, v16                                // 000000003F48: 02882144
	v_add_f32_e32 v69, v69, v17                                // 000000003F4C: 028A2345
	v_perm_b32 v42, v69, v68, s48                              // 000000003F50: D1ED002A 00C28945
	v_add_f32_e32 v70, v70, v18                                // 000000003F58: 028C2546
	v_add_f32_e32 v71, v71, v19                                // 000000003F5C: 028E2747
	v_perm_b32 v43, v71, v70, s48                              // 000000003F60: D1ED002B 00C28D47
	buffer_store_dwordx2 v[42:43], v20, s[16:19], 0 offen offset:32// 000000003F68: E0741020 80042A14
	v_add_f32_e32 v72, v72, v12                                // 000000003F70: 02901948
	v_add_f32_e32 v73, v73, v13                                // 000000003F74: 02921B49
	v_perm_b32 v44, v73, v72, s48                              // 000000003F78: D1ED002C 00C29149
	v_add_f32_e32 v74, v74, v14                                // 000000003F80: 02941D4A
	v_add_f32_e32 v75, v75, v15                                // 000000003F84: 02961F4B
	v_perm_b32 v45, v75, v74, s48                              // 000000003F88: D1ED002D 00C2954B
	buffer_store_dwordx2 v[44:45], v21, s[16:19], 0 offen      // 000000003F90: E0741000 80042C15
	v_add_f32_e32 v76, v76, v16                                // 000000003F98: 0298214C
	v_add_f32_e32 v77, v77, v17                                // 000000003F9C: 029A234D
	v_perm_b32 v46, v77, v76, s48                              // 000000003FA0: D1ED002E 00C2994D
	v_add_f32_e32 v78, v78, v18                                // 000000003FA8: 029C254E
	v_add_f32_e32 v79, v79, v19                                // 000000003FAC: 029E274F
	v_perm_b32 v47, v79, v78, s48                              // 000000003FB0: D1ED002F 00C29D4F
	buffer_store_dwordx2 v[46:47], v21, s[16:19], 0 offen offset:32// 000000003FB8: E0741020 80042E15
	v_add_f32_e32 v80, v80, v12                                // 000000003FC0: 02A01950
	v_add_f32_e32 v81, v81, v13                                // 000000003FC4: 02A21B51
	v_perm_b32 v48, v81, v80, s48                              // 000000003FC8: D1ED0030 00C2A151
	v_add_f32_e32 v82, v82, v14                                // 000000003FD0: 02A41D52
	v_add_f32_e32 v83, v83, v15                                // 000000003FD4: 02A61F53
	v_perm_b32 v49, v83, v82, s48                              // 000000003FD8: D1ED0031 00C2A553
	buffer_store_dwordx2 v[48:49], v22, s[16:19], 0 offen      // 000000003FE0: E0741000 80043016
	v_add_f32_e32 v84, v84, v16                                // 000000003FE8: 02A82154
	v_add_f32_e32 v85, v85, v17                                // 000000003FEC: 02AA2355
	v_perm_b32 v50, v85, v84, s48                              // 000000003FF0: D1ED0032 00C2A955
	v_add_f32_e32 v86, v86, v18                                // 000000003FF8: 02AC2556
	v_add_f32_e32 v87, v87, v19                                // 000000003FFC: 02AE2757
	v_perm_b32 v51, v87, v86, s48                              // 000000004000: D1ED0033 00C2AD57
	buffer_store_dwordx2 v[50:51], v22, s[16:19], 0 offen offset:32// 000000004008: E0741020 80043216

0000000000004010 <label_0744>:
	s_waitcnt vmcnt(0) expcnt(0) lgkmcnt(0)                    // 000000004010: BF8C0000
	s_endpgm                                                   // 000000004014: BF810000
